;; amdgpu-corpus repo=ROCm/Tensile kind=harvested arch=n/a opt=n/a

/******************************************/
/* Function Prefix                        */
/******************************************/



/******************************************/
/* Begin Kernel                           */
/******************************************/

// Component.Signature.SignatureDefault
.amdgcn_target "amdgcn-amd-amdhsa--gfx942"
.text
.protected Cijk_Alik_Bljk_SB_MT128x64x16_MI16x16x4x1_SN_1LDSB1_APM1_AF0EM1_AF1EM1_AMAS3_ASE_ASGT_ASLT_ASM_ASAE01_ASCE01_ASEM1_BL0_BS0_CLR0_DTVA0_DTVB0_ETSP_EPS0_ELFLR0_EMLL0_FSSC10_FL0_GLVWA4_GLVWB4_GRCGA1_GRPM1_GRVW4_GSU1_GSUASB_GLS0_IU1_K1_LBSPPA128_LBSPPB128_LPA4_LPB4_LRVW1_LWPMn1_MIAV1_MKFGSU256_NTA0_NTB0_NTC3_NTD3_NEPBS0_NLCA1_NLCB1_ONLL1_PGR2_PLR5_PKA0_SIA3_SLW1_SS1_SU0_SUM0_SUS0_SPO1_SRVW0_SSO8_SVW2_TSGRA0_TSGRB0_TT2_64_TLDS1_UMLDSA1_UMLDSB1_USFGROn1_VAW1_VSn1_VW2_VWB1_VFLRP0_WSGRA0_WSGRB0_WG64_4_1_WGM36
.globl Cijk_Alik_Bljk_SB_MT128x64x16_MI16x16x4x1_SN_1LDSB1_APM1_AF0EM1_AF1EM1_AMAS3_ASE_ASGT_ASLT_ASM_ASAE01_ASCE01_ASEM1_BL0_BS0_CLR0_DTVA0_DTVB0_ETSP_EPS0_ELFLR0_EMLL0_FSSC10_FL0_GLVWA4_GLVWB4_GRCGA1_GRPM1_GRVW4_GSU1_GSUASB_GLS0_IU1_K1_LBSPPA128_LBSPPB128_LPA4_LPB4_LRVW1_LWPMn1_MIAV1_MKFGSU256_NTA0_NTB0_NTC3_NTD3_NEPBS0_NLCA1_NLCB1_ONLL1_PGR2_PLR5_PKA0_SIA3_SLW1_SS1_SU0_SUM0_SUS0_SPO1_SRVW0_SSO8_SVW2_TSGRA0_TSGRB0_TT2_64_TLDS1_UMLDSA1_UMLDSB1_USFGROn1_VAW1_VSn1_VW2_VWB1_VFLRP0_WSGRA0_WSGRB0_WG64_4_1_WGM36
.p2align 8
.type Cijk_Alik_Bljk_SB_MT128x64x16_MI16x16x4x1_SN_1LDSB1_APM1_AF0EM1_AF1EM1_AMAS3_ASE_ASGT_ASLT_ASM_ASAE01_ASCE01_ASEM1_BL0_BS0_CLR0_DTVA0_DTVB0_ETSP_EPS0_ELFLR0_EMLL0_FSSC10_FL0_GLVWA4_GLVWB4_GRCGA1_GRPM1_GRVW4_GSU1_GSUASB_GLS0_IU1_K1_LBSPPA128_LBSPPB128_LPA4_LPB4_LRVW1_LWPMn1_MIAV1_MKFGSU256_NTA0_NTB0_NTC3_NTD3_NEPBS0_NLCA1_NLCB1_ONLL1_PGR2_PLR5_PKA0_SIA3_SLW1_SS1_SU0_SUM0_SUS0_SPO1_SRVW0_SSO8_SVW2_TSGRA0_TSGRB0_TT2_64_TLDS1_UMLDSA1_UMLDSB1_USFGROn1_VAW1_VSn1_VW2_VWB1_VFLRP0_WSGRA0_WSGRB0_WG64_4_1_WGM36,@function
.section .rodata,#alloc
.p2align 6
.amdhsa_kernel Cijk_Alik_Bljk_SB_MT128x64x16_MI16x16x4x1_SN_1LDSB1_APM1_AF0EM1_AF1EM1_AMAS3_ASE_ASGT_ASLT_ASM_ASAE01_ASCE01_ASEM1_BL0_BS0_CLR0_DTVA0_DTVB0_ETSP_EPS0_ELFLR0_EMLL0_FSSC10_FL0_GLVWA4_GLVWB4_GRCGA1_GRPM1_GRVW4_GSU1_GSUASB_GLS0_IU1_K1_LBSPPA128_LBSPPB128_LPA4_LPB4_LRVW1_LWPMn1_MIAV1_MKFGSU256_NTA0_NTB0_NTC3_NTD3_NEPBS0_NLCA1_NLCB1_ONLL1_PGR2_PLR5_PKA0_SIA3_SLW1_SS1_SU0_SUM0_SUS0_SPO1_SRVW0_SSO8_SVW2_TSGRA0_TSGRB0_TT2_64_TLDS1_UMLDSA1_UMLDSB1_USFGROn1_VAW1_VSn1_VW2_VWB1_VFLRP0_WSGRA0_WSGRB0_WG64_4_1_WGM36
  .amdhsa_user_sgpr_kernarg_segment_ptr 1
  .amdhsa_user_sgpr_kernarg_preload_offset 0
  .amdhsa_user_sgpr_kernarg_preload_length 0
  .amdhsa_user_sgpr_count 2
  .amdhsa_accum_offset 128 // accvgpr offset
  .amdhsa_next_free_vgpr 128 // vgprs
  .amdhsa_next_free_sgpr 92 // sgprs
  .amdhsa_group_segment_fixed_size 13824 // lds bytes
  .amdhsa_private_segment_fixed_size 0
  .amdhsa_system_sgpr_workgroup_id_x 1
  .amdhsa_system_sgpr_workgroup_id_y 1
  .amdhsa_system_sgpr_workgroup_id_z 1
  .amdhsa_system_vgpr_workitem_id 0
  .amdhsa_float_denorm_mode_32 3
  .amdhsa_float_denorm_mode_16_64 3
.end_amdhsa_kernel
.text

/******************************************/
/* Optimizations and Config:              */
/******************************************/
/* ThreadTile= 8 x 4 */
/* SubGroup= 16 x 16 */
/* VectorWidthA=2 */
/* VectorWidthB=1 */
/* GlobalLoadVectorWidthA=4, GlobalLoadVectorWidthB=4 */
/* DirectToLdsA=False */
/* DirectToLdsB=False */
/* UseSgprForGRO=False */
.amdgpu_metadata
---
amdhsa.version:
  - 1
  - 1
amdhsa.target: amdgcn-amd-amdhsa--gfx942
amdhsa.kernels:
  - .name: Cijk_Alik_Bljk_SB_MT128x64x16_MI16x16x4x1_SN_1LDSB1_APM1_AF0EM1_AF1EM1_AMAS3_ASE_ASGT_ASLT_ASM_ASAE01_ASCE01_ASEM1_BL0_BS0_CLR0_DTVA0_DTVB0_ETSP_EPS0_ELFLR0_EMLL0_FSSC10_FL0_GLVWA4_GLVWB4_GRCGA1_GRPM1_GRVW4_GSU1_GSUASB_GLS0_IU1_K1_LBSPPA128_LBSPPB128_LPA4_LPB4_LRVW1_LWPMn1_MIAV1_MKFGSU256_NTA0_NTB0_NTC3_NTD3_NEPBS0_NLCA1_NLCB1_ONLL1_PGR2_PLR5_PKA0_SIA3_SLW1_SS1_SU0_SUM0_SUS0_SPO1_SRVW0_SSO8_SVW2_TSGRA0_TSGRB0_TT2_64_TLDS1_UMLDSA1_UMLDSB1_USFGROn1_VAW1_VSn1_VW2_VWB1_VFLRP0_WSGRA0_WSGRB0_WG64_4_1_WGM36
    .symbol: 'Cijk_Alik_Bljk_SB_MT128x64x16_MI16x16x4x1_SN_1LDSB1_APM1_AF0EM1_AF1EM1_AMAS3_ASE_ASGT_ASLT_ASM_ASAE01_ASCE01_ASEM1_BL0_BS0_CLR0_DTVA0_DTVB0_ETSP_EPS0_ELFLR0_EMLL0_FSSC10_FL0_GLVWA4_GLVWB4_GRCGA1_GRPM1_GRVW4_GSU1_GSUASB_GLS0_IU1_K1_LBSPPA128_LBSPPB128_LPA4_LPB4_LRVW1_LWPMn1_MIAV1_MKFGSU256_NTA0_NTB0_NTC3_NTD3_NEPBS0_NLCA1_NLCB1_ONLL1_PGR2_PLR5_PKA0_SIA3_SLW1_SS1_SU0_SUM0_SUS0_SPO1_SRVW0_SSO8_SVW2_TSGRA0_TSGRB0_TT2_64_TLDS1_UMLDSA1_UMLDSB1_USFGROn1_VAW1_VSn1_VW2_VWB1_VFLRP0_WSGRA0_WSGRB0_WG64_4_1_WGM36.kd'
    .language:                   OpenCL C
    .language_version:
      - 2
      - 0
    .args:
      - .name:            Tensor2dSizeA
        .size:            8
        .offset:          0
        .value_kind:      by_value
        .value_type:      u64
      - .name:            Tensor2dSizeB
        .size:            8
        .offset:          8
        .value_kind:      by_value
        .value_type:      u64
      - .name:            AddressD
        .size:            8
        .offset:          16
        .value_kind:      by_value
        .value_type:      u64
      - .name:            AddressC
        .size:            8
        .offset:          24
        .value_kind:      by_value
        .value_type:      u64
      - .name:            AddressA
        .size:            8
        .offset:          32
        .value_kind:      by_value
        .value_type:      u64
      - .name:            AddressB
        .size:            8
        .offset:          40
        .value_kind:      by_value
        .value_type:      u64
      - .name:            Alpha
        .size:            4
        .offset:          48
        .value_kind:      by_value
        .value_type:      u32
      - .name:            Beta
        .size:            4
        .offset:          52
        .value_kind:      by_value
        .value_type:      u32
      - .name:            StridesD
        .size:            8
        .offset:          56
        .value_kind:      by_value
        .value_type:      u64
      - .name:            StridesC
        .size:            8
        .offset:          64
        .value_kind:      by_value
        .value_type:      u64
      - .name:            StridesA
        .size:            8
        .offset:          72
        .value_kind:      by_value
        .value_type:      u64
      - .name:            StridesB
        .size:            8
        .offset:          80
        .value_kind:      by_value
        .value_type:      u64
      - .name:            SizesFree
        .size:            12
        .offset:          88
        .value_kind:      by_value
        .value_type:      u96
      - .name:            SizesSum
        .size:            4
        .offset:          100
        .value_kind:      by_value
        .value_type:      u32
      - .name:            NumWorkGroups0
        .size:            4
        .offset:          104
        .value_kind:      by_value
        .value_type:      u32
      - .name:            NumWorkGroups1
        .size:            4
        .offset:          108
        .value_kind:      by_value
        .value_type:      u32
      - .name:            NumFullBlocks
        .size:            4
        .offset:          112
        .value_kind:      by_value
        .value_type:      u32
      - .name:            WgmRemainder1
        .size:            4
        .offset:          116
        .value_kind:      by_value
        .value_type:      u32
      - .name:            MagicNumberWgmRemainder1
        .size:            4
        .offset:          120
        .value_kind:      by_value
        .value_type:      u32
    .group_segment_fixed_size:   13824
    .kernarg_segment_align:      8
    .kernarg_segment_size:       128
    .max_flat_workgroup_size:    256
    .private_segment_fixed_size: 0
    .sgpr_count:                 92
    .sgpr_spill_count:           0
    .vgpr_count:                 128
    .vgpr_spill_count:           0
    .wavefront_size:             64
...
.end_amdgpu_metadata
Cijk_Alik_Bljk_SB_MT128x64x16_MI16x16x4x1_SN_1LDSB1_APM1_AF0EM1_AF1EM1_AMAS3_ASE_ASGT_ASLT_ASM_ASAE01_ASCE01_ASEM1_BL0_BS0_CLR0_DTVA0_DTVB0_ETSP_EPS0_ELFLR0_EMLL0_FSSC10_FL0_GLVWA4_GLVWB4_GRCGA1_GRPM1_GRVW4_GSU1_GSUASB_GLS0_IU1_K1_LBSPPA128_LBSPPB128_LPA4_LPB4_LRVW1_LWPMn1_MIAV1_MKFGSU256_NTA0_NTB0_NTC3_NTD3_NEPBS0_NLCA1_NLCB1_ONLL1_PGR2_PLR5_PKA0_SIA3_SLW1_SS1_SU0_SUM0_SUS0_SPO1_SRVW0_SSO8_SVW2_TSGRA0_TSGRB0_TT2_64_TLDS1_UMLDSA1_UMLDSB1_USFGROn1_VAW1_VSn1_VW2_VWB1_VFLRP0_WSGRA0_WSGRB0_WG64_4_1_WGM36:

/******************************************/
/* Asm syntax workarounds                 */
/******************************************/
.macro _v_add_co_u32 dst:req, cc:req, src0:req, src1:req, dpp=
   v_add_co_u32 \dst, \cc, \src0, \src1 \dpp
.endm

.macro _v_add_u32 dst:req, src0:req, src1:req, dpp=
   v_add_u32 \dst, \src0, \src1 \dpp
.endm

.macro _v_add_i32 dst:req, src0:req, src1:req, dpp=
   v_add_i32 \dst, \src0, \src1 \dpp
.endm

.macro _v_addc_co_u32 dst:req, ccOut:req, src0:req, ccIn:req, src1:req, dpp=
   v_addc_co_u32 \dst, \ccOut, \src0, \ccIn, \src1 \dpp
.endm

.macro _v_sub_co_u32 dst:req, cc:req, src0:req, src1:req, dpp=
   v_sub_co_u32 \dst, \cc, \src0, \src1 \dpp
.endm

.macro _v_sub_u32 dst:req, src0:req, src1:req, dpp=
   v_sub_u32 \dst, \src0, \src1 \dpp
.endm

.macro _v_sub_i32 dst:req, src0:req, src1:req, dpp=
   v_sub_i32 \dst, \src0, \src1 \dpp
.endm

.macro _v_add_lshl_u32 dst:req, src0:req, src1:req, shiftCnt:req
    v_add_lshl_u32 \dst, \src0, \src1, \shiftCnt
.endm

.macro _v_lshl_add_u32 dst:req, src0:req, src1:req, shiftCnt:req
    v_lshl_add_u32 \dst, \src0, \src1, \shiftCnt
.endm

.macro _v_lshl_or_b32 dst:req, src0:req, shiftCnt:req, src1:req
    v_lshl_or_b32 \dst, \src0, \shiftCnt, \src1
.endm

.macro _v_dot2acc_f32_f16 dst, src0, src1
v_dot2c_f32_f16 \dst, \src0, \src1
.endm

.macro _v_cmpx_lt_i16 dst, src0, src1=
   v_cmpx_lt_i16 \dst, \src0, \src1 
.endm

.macro _v_cmpx_lt_i32 dst, src0, src1=
   v_cmpx_lt_i32 \dst, \src0, \src1 
.endm

.macro _v_cmpx_lt_i64 dst, src0, src1=
   v_cmpx_lt_i64 \dst, \src0, \src1 
.endm

.macro _v_cmpx_lt_u16 dst, src0, src1=
   v_cmpx_lt_u16 \dst, \src0, \src1 
.endm

.macro _v_cmpx_lt_u32 dst, src0, src1=
   v_cmpx_lt_u32 \dst, \src0, \src1 
.endm

.macro _v_cmpx_lt_u64 dst, src0, src1=
   v_cmpx_lt_u64 \dst, \src0, \src1 
.endm

.macro _v_cmpx_eq_i16 dst, src0, src1=
   v_cmpx_eq_i16 \dst, \src0, \src1 
.endm

.macro _v_cmpx_eq_i32 dst, src0, src1=
   v_cmpx_eq_i32 \dst, \src0, \src1 
.endm

.macro _v_cmpx_eq_i64 dst, src0, src1=
   v_cmpx_eq_i64 \dst, \src0, \src1 
.endm

.macro _v_cmpx_eq_u16 dst, src0, src1=
   v_cmpx_eq_u16 \dst, \src0, \src1 
.endm

.macro _v_cmpx_eq_u32 dst, src0, src1=
   v_cmpx_eq_u32 \dst, \src0, \src1 
.endm

.macro _v_cmpx_eq_u64 dst, src0, src1=
   v_cmpx_eq_u64 \dst, \src0, \src1 
.endm

.macro _v_cmpx_le_i16 dst, src0, src1=
   v_cmpx_le_i16 \dst, \src0, \src1 
.endm

.macro _v_cmpx_le_i32 dst, src0, src1=
   v_cmpx_le_i32 \dst, \src0, \src1 
.endm

.macro _v_cmpx_le_i64 dst, src0, src1=
   v_cmpx_le_i64 \dst, \src0, \src1 
.endm

.macro _v_cmpx_le_u16 dst, src0, src1=
   v_cmpx_le_u16 \dst, \src0, \src1 
.endm

.macro _v_cmpx_le_u32 dst, src0, src1=
   v_cmpx_le_u32 \dst, \src0, \src1 
.endm

.macro _v_cmpx_le_u64 dst, src0, src1=
   v_cmpx_le_u64 \dst, \src0, \src1 
.endm

.macro _v_cmpx_gt_i16 dst, src0, src1=
   v_cmpx_gt_i16 \dst, \src0, \src1 
.endm

.macro _v_cmpx_gt_i32 dst, src0, src1=
   v_cmpx_gt_i32 \dst, \src0, \src1 
.endm

.macro _v_cmpx_gt_i64 dst, src0, src1=
   v_cmpx_gt_i64 \dst, \src0, \src1 
.endm

.macro _v_cmpx_gt_u16 dst, src0, src1=
   v_cmpx_gt_u16 \dst, \src0, \src1 
.endm

.macro _v_cmpx_gt_u32 dst, src0, src1=
   v_cmpx_gt_u32 \dst, \src0, \src1 
.endm

.macro _v_cmpx_gt_u64 dst, src0, src1=
   v_cmpx_gt_u64 \dst, \src0, \src1 
.endm

.macro _v_cmpx_ne_i16 dst, src0, src1=
   v_cmpx_ne_i16 \dst, \src0, \src1 
.endm

.macro _v_cmpx_ne_i32 dst, src0, src1=
   v_cmpx_ne_i32 \dst, \src0, \src1 
.endm

.macro _v_cmpx_ne_i64 dst, src0, src1=
   v_cmpx_ne_i64 \dst, \src0, \src1 
.endm

.macro _v_cmpx_ne_u16 dst, src0, src1=
   v_cmpx_ne_u16 \dst, \src0, \src1 
.endm

.macro _v_cmpx_ne_u32 dst, src0, src1=
   v_cmpx_ne_u32 \dst, \src0, \src1 
.endm

.macro _v_cmpx_ne_u64 dst, src0, src1=
   v_cmpx_ne_u64 \dst, \src0, \src1 
.endm

.macro _v_cmpx_lg_i16 dst, src0, src1=
   v_cmpx_lg_i16 \dst, \src0, \src1 
.endm

.macro _v_cmpx_lg_i32 dst, src0, src1=
   v_cmpx_lg_i32 \dst, \src0, \src1 
.endm

.macro _v_cmpx_lg_i64 dst, src0, src1=
   v_cmpx_lg_i64 \dst, \src0, \src1 
.endm

.macro _v_cmpx_lg_u16 dst, src0, src1=
   v_cmpx_lg_u16 \dst, \src0, \src1 
.endm

.macro _v_cmpx_lg_u32 dst, src0, src1=
   v_cmpx_lg_u32 \dst, \src0, \src1 
.endm

.macro _v_cmpx_lg_u64 dst, src0, src1=
   v_cmpx_lg_u64 \dst, \src0, \src1 
.endm

.macro _v_cmpx_ge_i16 dst, src0, src1=
   v_cmpx_ge_i16 \dst, \src0, \src1 
.endm

.macro _v_cmpx_ge_i32 dst, src0, src1=
   v_cmpx_ge_i32 \dst, \src0, \src1 
.endm

.macro _v_cmpx_ge_i64 dst, src0, src1=
   v_cmpx_ge_i64 \dst, \src0, \src1 
.endm

.macro _v_cmpx_ge_u16 dst, src0, src1=
   v_cmpx_ge_u16 \dst, \src0, \src1 
.endm

.macro _v_cmpx_ge_u32 dst, src0, src1=
   v_cmpx_ge_u32 \dst, \src0, \src1 
.endm

.macro _v_cmpx_ge_u64 dst, src0, src1=
   v_cmpx_ge_u64 \dst, \src0, \src1 
.endm

.macro _v_cmpx_o_i16 dst, src0, src1=
   v_cmpx_o_i16 \dst, \src0, \src1 
.endm

.macro _v_cmpx_o_i32 dst, src0, src1=
   v_cmpx_o_i32 \dst, \src0, \src1 
.endm

.macro _v_cmpx_o_i64 dst, src0, src1=
   v_cmpx_o_i64 \dst, \src0, \src1 
.endm

.macro _v_cmpx_o_u16 dst, src0, src1=
   v_cmpx_o_u16 \dst, \src0, \src1 
.endm

.macro _v_cmpx_o_u32 dst, src0, src1=
   v_cmpx_o_u32 \dst, \src0, \src1 
.endm

.macro _v_cmpx_o_u64 dst, src0, src1=
   v_cmpx_o_u64 \dst, \src0, \src1 
.endm

.macro _v_cmpx_u_i16 dst, src0, src1=
   v_cmpx_u_i16 \dst, \src0, \src1 
.endm

.macro _v_cmpx_u_i32 dst, src0, src1=
   v_cmpx_u_i32 \dst, \src0, \src1 
.endm

.macro _v_cmpx_u_i64 dst, src0, src1=
   v_cmpx_u_i64 \dst, \src0, \src1 
.endm

.macro _v_cmpx_u_u16 dst, src0, src1=
   v_cmpx_u_u16 \dst, \src0, \src1 
.endm

.macro _v_cmpx_u_u32 dst, src0, src1=
   v_cmpx_u_u32 \dst, \src0, \src1 
.endm

.macro _v_cmpx_u_u64 dst, src0, src1=
   v_cmpx_u_u64 \dst, \src0, \src1 
.endm
.macro _v_mac_f32 c:req, a:req, b:req
    v_fmac_f32 \c, \a, \b
.endmacro

/* scale global load macros */
.macro _s_load_b32 dst base offset
    s_load_dword \dst \base \offset
.endm

.macro _s_load_b64 dst base offset
    s_load_dwordx2 \dst \base \offset
.endm

.macro _s_load_b128 dst base offset
    s_load_dwordx4 \dst \base \offset
.endm

.macro _s_load_b256 dst base offset
    s_load_dwordx8 \dst \base \offset
.endm

.macro _s_load_b512 dst base offset
    s_load_dwordx16 \dst \base \offset
.endm


/* ds operation macros */
.macro _ds_load_u8 dst src offset
    ds_read_u8 \dst \src \offset
.endm

.macro _ds_load_u8_d16_hi dst src offset
    ds_read_u8_d16_hi \dst \src \offset
.endm

.macro _ds_load_u16 dst src offset
    ds_read_u16 \dst \src \offset
.endm

.macro _ds_load_u16_d16_hi dst src offset
    ds_read_u16_d16_hi \dst \src \offset
.endm

.macro _ds_load_b32 dst src offset
    ds_read_b32 \dst \src \offset
.endm

.macro _ds_load_b64 dst src offset
    ds_read_b64 \dst \src \offset
.endm

.macro _ds_load_b128 dst src offset
    ds_read_b128 \dst \src \offset
.endm

.macro _ds_store_b8 dst src offset
    ds_write_b8 \dst \src \offset
.endm

.macro _ds_store_b8_d16_hi dst src offset
    ds_write_b8_d16_hi \dst \src \offset
.endm

.macro _ds_store_b16 dst src offset
    ds_write_b16 \dst \src \offset
.endm

.macro _ds_store_b16_d16_hi dst src offset
    ds_write_b16_d16_hi \dst \src \offset
.endm

.macro _ds_store_b32 dst src offset
    ds_write_b32 \dst \src \offset
.endm

.macro _ds_store_b64 dst src offset
    ds_write_b64 \dst \src \offset
.endm

.macro _ds_store_b128 dst src offset
    ds_write_b128 \dst \src \offset
.endm

.macro _ds_load2_b32 dst src offset1 offset2
    ds_read2_b32 \dst \src \offset1 \offset2
.endm

.macro _ds_load2_b64 dst src offset1 offset2
    ds_read2_b64 \dst \src \offset1 \offset2
.endm

.macro _ds_store2_b32 dst src offset1 offset2
    ds_write2_b32 \dst \src \offset1 \offset2
.endm

.macro _ds_store2_b64 dst src offset1 offset2
    ds_write2_b64 \dst \src \offset1 \offset2
.endm


/* buffer memory operation macros */
.macro _buffer_load_b32 dst voffset base soffset offen ioffset md0 md1 md2
    buffer_load_dword \dst \voffset \base \soffset \offen \ioffset \md0 \md1 \md2
.endm

.macro _buffer_load_b64 dst voffset base soffset offen ioffset md0 md1 md2
    buffer_load_dwordx2 \dst \voffset \base \soffset \offen \ioffset \md0 \md1 \md2
.endm

.macro _buffer_load_b96 dst voffset base soffset offen ioffset md0 md1 md2
    buffer_load_dwordx3 \dst \voffset \base \soffset \offen \ioffset \md0 \md1 \md2
.endm

.macro _buffer_load_b128 dst voffset base soffset offen ioffset md0 md1 md2
    buffer_load_dwordx4 \dst \voffset \base \soffset \offen \ioffset \md0 \md1 \md2
.endm

.macro _buffer_load_d16_b16 dst voffset base soffset offen ioffset md0 md1 md2
    buffer_load_short_d16 \dst \voffset \base \soffset \offen \ioffset \md0 \md1 \md2
.endm

.macro _buffer_load_d16_hi_b16 dst voffset base soffset offen ioffset md0 md1 md2
    buffer_load_short_d16_hi \dst \voffset \base \soffset \offen \ioffset \md0 \md1 \md2
.endm

.macro _buffer_load_d16_u8 dst voffset base soffset offen ioffset md0 md1 md2
    buffer_load_ubyte_d16 \dst \voffset \base \soffset \offen \ioffset \md0 \md1 \md2
.endm

.macro _buffer_load_d16_hi_u8 dst voffset base soffset offen ioffset md0 md1 md2
    buffer_load_ubyte_d16_hi \dst \voffset \base \soffset \offen \ioffset \md0 \md1 \md2
.endm

.macro _buffer_load_u16 dst voffset base soffset offen ioffset md0 md1 md2
    buffer_load_ushort \dst \voffset \base \soffset \offen \ioffset \md0 \md1 \md2
.endm

.macro _buffer_load_b32_dtl voffset base soffset offen ioffset md0 md1 md2
    buffer_load_dword \voffset \base \soffset \offen \ioffset \md0 \md1 \md2
.endm

.macro _buffer_load_b64_dtl voffset base soffset offen ioffset md0 md1 md2
    buffer_load_dwordx2 \voffset \base \soffset \offen \ioffset \md0 \md1 \md2
.endm

.macro _buffer_load_b128_dtl voffset base soffset offen ioffset md0 md1 md2
    buffer_load_dwordx4 \voffset \base \soffset \offen \ioffset \md0 \md1 \md2
.endm

.macro _buffer_load_u16_dtl voffset base soffset offen ioffset md0 md1 md2
    buffer_load_ushort \voffset \base \soffset \offen \ioffset \md0 \md1 \md2
.endm

.macro _buffer_store_b32 src voffset base soffset offen ioffset md0 md1 md2
    buffer_store_dword \src \voffset \base \soffset \offen \ioffset \md0 \md1 \md2
.endm

.macro _buffer_store_b64 src voffset base soffset offen ioffset md0 md1 md2
    buffer_store_dwordx2 \src \voffset \base \soffset \offen \ioffset \md0 \md1 \md2
.endm

.macro _buffer_store_b96 src voffset base soffset offen ioffset md0 md1 md2
    buffer_store_dwordx3 \src \voffset \base \soffset \offen \ioffset \md0 \md1 \md2
.endm

.macro _buffer_store_b128 src voffset base soffset offen ioffset md0 md1 md2
    buffer_store_dwordx4 \src \voffset \base \soffset \offen \ioffset \md0 \md1 \md2
.endm

.macro _buffer_store_b16 src voffset base soffset offen ioffset md0 md1 md2
    buffer_store_short \src \voffset \base \soffset \offen \ioffset \md0 \md1 \md2
.endm

.macro _buffer_store_d16_hi_b16 src voffset base soffset offen ioffset md0 md1 md2
    buffer_store_short_d16_hi \src \voffset \base \soffset \offen \ioffset \md0 \md1 \md2
.endm

.macro _buffer_store_b8 src voffset base soffset offen ioffset md0 md1 md2
    buffer_store_byte \src \voffset \base \soffset \offen \ioffset \md0 \md1 \md2
.endm

.macro _buffer_store_d16_hi_b8 src voffset base soffset offen ioffset md0 md1 md2
    buffer_store_byte_d16_hi \src \voffset \base \soffset \offen \ioffset \md0 \md1 \md2
.endm

.macro _buffer_atomic_cmpswap_b32 dst voffset base soffset offen ioffset md0 md1 md2
    buffer_atomic_cmpswap \dst \voffset \base \soffset \offen \ioffset \md0 \md1 \md2
.endm

.macro _buffer_atomic_cmpswap_b64 dst voffset base soffset offen ioffset md0 md1 md2
    buffer_atomic_cmpswap_x2 \dst \voffset \base \soffset \offen \ioffset \md0 \md1 \md2
.endm


/* buffer memory operation macros */
.macro _global_load_b32 dst base src ioffset md0 md1 md2
    global_load_dword \dst \base \src \ioffset \md0 \md1 \md2
.endm

.macro _global_load_b64 dst base src ioffset md0 md1 md2
    global_load_dwordx2 \dst \base \src \ioffset \md0 \md1 \md2
.endm

.macro _global_load_b96 dst base src ioffset md0 md1 md2
    global_load_dwordx3 \dst \base \src \ioffset \md0 \md1 \md2
.endm

.macro _global_load_b128 dst base src ioffset md0 md1 md2
    global_load_dwordx4 \dst \base \src \ioffset \md0 \md1 \md2
.endm

.macro _global_load_d16_b16 dst base src ioffset md0 md1 md2
    global_load_short_d16 \dst \base \src \ioffset \md0 \md1 \md2
.endm

.macro _global_load_d16_hi_b16 dst base src ioffset md0 md1 md2
    global_load_short_d16_hi \dst \base \src \ioffset \md0 \md1 \md2
.endm

.macro _global_load_d16_u8 dst base src ioffset md0 md1 md2
    global_load_ubyte_d16 \dst \base \src \ioffset \md0 \md1 \md2
.endm

.macro _global_load_d16_hi_u8 dst base src ioffset md0 md1 md2
    global_load_ubyte_d16_hi \dst \base \src \ioffset \md0 \md1 \md2
.endm

.macro _global_load_u16 dst base src ioffset md0 md1 md2
    global_load_ushort \dst \base \src \ioffset \md0 \md1 \md2
.endm

.macro _global_store_b32 base src src2 md0 md1 md2
    global_store_dword \base \src \src2 \md0 \md1 \md2
.endm

.macro _global_store_b64 base src src2 md0 md1 md2
    global_store_dwordx2 \base \src \src2 \md0 \md1 \md2
.endm

.macro _global_store_b96 base src src2 md0 md1 md2
    global_store_dwordx3 \base \src \src2 \md0 \md1 \md2
.endm

.macro _global_store_b128 base src src2 md0 md1 md2
    global_store_dwordx4 \base \src \src2 \md0 \md1 \md2
.endm

.macro _global_store_d16_b16 base src src2 md0 md1 md2
    global_store_short \base \src \src2 \md0 \md1 \md2
.endm

.macro _global_store_d16_hi_b16 base src src2 md0 md1 md2
    global_store_short_d16_hi \base \src \src2 \md0 \md1 \md2
.endm

.macro _global_store_d16_u8 base src src2 md0 md1 md2
    global_store_ubyte_d16 \base \src \src2 \md0 \md1 \md2
.endm

.macro _global_store_d16_hi_u8 base src src2 md0 md1 md2
    global_store_ubyte_d16_hi \base \src \src2 \md0 \md1 \md2
.endm

.macro _global_store_u16 base src src2 md0 md1 md2
    global_store_ushort \base \src \src2 \md0 \md1 \md2
.endm

.macro _global_atomic_cmpswap_b32 tmp base data src ioffset md
    global_atomic_cmpswap \tmp \base \data \src \ioffset \md
.endm

.macro _global_atomic_cmpswap_b64 tmp base data src ioffset md
    global_atomic_cmpswap_x2 \tmp \base \data \src \ioffset \md
.endm


/******************************************/
/* Magic div and mod functions            */
/******************************************/
.macro V_MAGIC_DIV dstIdx:req, dividend:req, magicNumber:req, magicShift:req, magicA:req
    v_mul_hi_u32 v[\dstIdx+1], \dividend, \magicNumber
    v_mul_lo_u32 v[\dstIdx+0], \dividend, \magicA
    _v_add_u32 v[\dstIdx+0], v[\dstIdx+0], v[\dstIdx+1]
    v_lshrrev_b32 v[\dstIdx+0], \magicShift, v[\dstIdx+0]
.endm

/******************************************/
/* VGPR Assignments                       */
/******************************************/
/* ValuC range: [0-32), serializedStore enabled */
.set vgprValuC, 0
/* ValuA/B   Xn=PLR buffer idx,  In=InnerUnroll idx */
.set vgprValuA_X0_I0, 32
.set vgprValuA_X1_I0, 34
.set vgprValuA_X2_I0, 36
.set vgprValuA_X3_I0, 38
.set vgprG2LA, 68
.set vgprValuB_X0_I0, 40
.set vgprValuB_X1_I0, 44
.set vgprValuB_X2_I0, 48
.set vgprValuB_X3_I0, 52
.set vgprG2LB, 76
.set vgprLocalWriteAddrA, 56
.set vgprLocalWriteAddrB, 57
.set vgprGlobalReadAddrA, 58
.set vgprGlobalReadAddrB, 62
.set vgprGlobalReadIncsA, 64
.set vgprGlobalReadIncsB, 66
.set vgprLocalReadAddrA, 80
.set vgprLocalReadAddrB, 81
.set vgprSerial, 82
/* Num VGPR=128 */
/* Num AccVGPR=0 */

/******************************************/
/* SGPR Assignments                       */
/******************************************/
.set sgprKernArgAddress, 0 // (2)
.set sgprWorkGroup0, 2 // (1)
.set sgprWorkGroup1, 3 // (1)
.set sgprWorkGroup2, 4 // (1)
.set sgprLoopCounterL, 5 // (1)
.set sgprOrigLoopCounter, 6 // (1)
.set sgprTensor2dSizeA, 8 // (2)
.set sgprTensor2dSizeB, 10 // (2)
.set sgprAddressD, 12 // (2)
.set sgprAddressC, 14 // (2)
.set sgprAddressA, 16 // (2)
.set sgprAddressB, 18 // (2)
.set sgprAlpha, 20 // (1)
.set sgprBeta, 21 // (1)
.set sgprStridesD, 22 // (2)
.set sgprStridesC, 24 // (2)
.set sgprStridesA, 26 // (2)
.set sgprStridesB, 28 // (2)
.set sgprSizesFree, 30 // (3)
.set sgprSizesSum, 33 // (1)
.set sgprNumWorkGroups0, 34 // (1)
.set sgprNumWorkGroups1, 35 // (1)
.set sgprNumFullBlocks, 36 // (1)
.set sgprWgmRemainder1, 37 // (1)
.set sgprMagicNumberWgmRemainder1, 38 // (1)
/* max SGPR=92 */

/* Size Assignments */
.set sgprSizeI, sgprSizesFree+0
.set sgprSizeJ, sgprSizesFree+1
.set sgprSizeK, sgprSizesFree+2
.set sgprSizeL, sgprSizesSum+0

/* Stride Assignments */
.set constStrideD0I, 1
.set sgprStrideD1J, sgprStridesD+0
.set sgprStrideDK, sgprStridesD+1
.set constStrideC0I, 1
.set sgprStrideC1J, sgprStridesC+0
.set sgprStrideCK, sgprStridesC+1
.set constStrideAL, 1
.set sgprStrideA0I, sgprStridesA+0
.set sgprStrideAK, sgprStridesA+1
.set constStrideBL, 1
.set sgprStrideB1J, sgprStridesB+0
.set sgprStrideBK, sgprStridesB+1

.set MT0, 128
.set MT1, 64
.set DepthU, 16
.set GSU, 1
.set BpeA, 4
.set BpeALog2, 2
.set BpeB, 4
.set BpeBLog2, 2
/* Number of elements to shift-left SRD */
.set SrdShiftLeftA, 4
.set SrdShiftLeftB, 4

/* Global Offset D */
.macro GLOBAL_OFFSET_D vgprAddr:req vgprOffset0I:req vgprOffset1J:req sgprOffsetK:req vgprTmp:req
v_mul_lo_u32 v[\vgprTmp+0], s[sgprStrideD1J], v[\vgprOffset1J] // mul d1 lower
v_mul_hi_u32 v[\vgprTmp+1], s[sgprStrideD1J], v[\vgprOffset1J] // mul d1 upper
_v_add_co_u32 v[\vgprAddr+0], vcc, v[\vgprOffset0I], v[\vgprTmp+0] // accumulate K lower
_v_addc_co_u32 v[\vgprAddr+1], vcc, v[\vgprTmp+1], 0, vcc // accumulate K upper
v_mov_b32 v[\vgprTmp+2], s[\sgprOffsetK]           // sgprOffset -> vgprTmp+2
v_mul_lo_u32 v[\vgprTmp+0], s[sgprStrideDK], v[\vgprTmp+2] // other stride mul d2 lower
v_mul_hi_u32 v[\vgprTmp+1], s[sgprStrideDK], v[\vgprTmp+2] // mul d2 upper
_v_add_co_u32 v[\vgprAddr+0], vcc, v[\vgprAddr+0], v[\vgprTmp+0] // accumulate K lower
_v_addc_co_u32 v[\vgprAddr+1], vcc, v[\vgprTmp+1], v[\vgprAddr+1], vcc // accumulate K upper
v_lshlrev_b64 v[\vgprAddr+0:\vgprAddr+1], 0x2, v[\vgprAddr+0:\vgprAddr+1] // offset *= bytes/element
.endm

/* Global Offset C */
.macro GLOBAL_OFFSET_C vgprAddr:req vgprOffset0I:req vgprOffset1J:req sgprOffsetK:req vgprTmp:req
v_mul_lo_u32 v[\vgprTmp+0], s[sgprStrideC1J], v[\vgprOffset1J] // mul d1 lower
v_mul_hi_u32 v[\vgprTmp+1], s[sgprStrideC1J], v[\vgprOffset1J] // mul d1 upper
_v_add_co_u32 v[\vgprAddr+0], vcc, v[\vgprOffset0I], v[\vgprTmp+0] // accumulate K lower
_v_addc_co_u32 v[\vgprAddr+1], vcc, v[\vgprTmp+1], 0, vcc // accumulate K upper
v_mov_b32 v[\vgprTmp+2], s[\sgprOffsetK]           // sgprOffset -> vgprTmp+2
v_mul_lo_u32 v[\vgprTmp+0], s[sgprStrideCK], v[\vgprTmp+2] // other stride mul d2 lower
v_mul_hi_u32 v[\vgprTmp+1], s[sgprStrideCK], v[\vgprTmp+2] // mul d2 upper
_v_add_co_u32 v[\vgprAddr+0], vcc, v[\vgprAddr+0], v[\vgprTmp+0] // accumulate K lower
_v_addc_co_u32 v[\vgprAddr+1], vcc, v[\vgprTmp+1], v[\vgprAddr+1], vcc // accumulate K upper
v_lshlrev_b64 v[\vgprAddr+0:\vgprAddr+1], 0x2, v[\vgprAddr+0:\vgprAddr+1] // offset *= bytes/element
.endm

/* Global Offset A */
.macro GLOBAL_OFFSET_A vgprAddr:req vgprOffsetL:req vgprOffset0I:req sgprOffsetK:req vgprTmp:req
v_mul_lo_u32 v[\vgprTmp+0], s[sgprStrideA0I], v[\vgprOffset0I] // mul d1 lower
v_mul_hi_u32 v[\vgprTmp+1], s[sgprStrideA0I], v[\vgprOffset0I] // mul d1 upper
_v_add_co_u32 v[\vgprAddr+0], vcc, v[\vgprOffsetL], v[\vgprTmp+0] // accumulate K lower
_v_addc_co_u32 v[\vgprAddr+1], vcc, v[\vgprTmp+1], 0, vcc // accumulate K upper
v_mov_b32 v[\vgprTmp+2], s[\sgprOffsetK]           // sgprOffset -> vgprTmp+2
v_mul_lo_u32 v[\vgprTmp+0], s[sgprStrideAK], v[\vgprTmp+2] // other stride mul d2 lower
v_mul_hi_u32 v[\vgprTmp+1], s[sgprStrideAK], v[\vgprTmp+2] // mul d2 upper
_v_add_co_u32 v[\vgprAddr+0], vcc, v[\vgprAddr+0], v[\vgprTmp+0] // accumulate K lower
_v_addc_co_u32 v[\vgprAddr+1], vcc, v[\vgprTmp+1], v[\vgprAddr+1], vcc // accumulate K upper
v_lshlrev_b64 v[\vgprAddr+0:\vgprAddr+1], 0x2, v[\vgprAddr+0:\vgprAddr+1] // offset *= bytes/element
.endm

/* Global Offset B */
.macro GLOBAL_OFFSET_B vgprAddr:req vgprOffsetL:req vgprOffset1J:req sgprOffsetK:req vgprTmp:req
v_mul_lo_u32 v[\vgprTmp+0], s[sgprStrideB1J], v[\vgprOffset1J] // mul d1 lower
v_mul_hi_u32 v[\vgprTmp+1], s[sgprStrideB1J], v[\vgprOffset1J] // mul d1 upper
_v_add_co_u32 v[\vgprAddr+0], vcc, v[\vgprOffsetL], v[\vgprTmp+0] // accumulate K lower
_v_addc_co_u32 v[\vgprAddr+1], vcc, v[\vgprTmp+1], 0, vcc // accumulate K upper
v_mov_b32 v[\vgprTmp+2], s[\sgprOffsetK]           // sgprOffset -> vgprTmp+2
v_mul_lo_u32 v[\vgprTmp+0], s[sgprStrideBK], v[\vgprTmp+2] // other stride mul d2 lower
v_mul_hi_u32 v[\vgprTmp+1], s[sgprStrideBK], v[\vgprTmp+2] // mul d2 upper
_v_add_co_u32 v[\vgprAddr+0], vcc, v[\vgprAddr+0], v[\vgprTmp+0] // accumulate K lower
_v_addc_co_u32 v[\vgprAddr+1], vcc, v[\vgprTmp+1], v[\vgprAddr+1], vcc // accumulate K upper
v_lshlrev_b64 v[\vgprAddr+0:\vgprAddr+1], 0x2, v[\vgprAddr+0:\vgprAddr+1] // offset *= bytes/element
.endm

/******************************************/
/* Dynamic Scalar Divide: vQuotient=vDividend/vDivisor; vRemainder=vDividend%vDivisor; */
/******************************************/
.macro DYNAMIC_VECTOR_DIVIDE vQuotient vRemainder vDividend vDivisor vTmp0 vTmp1 sTmp
v_cvt_f32_u32 v[\vQuotient], v[\vDivisor]          // 
v_rcp_f32 v[\vQuotient], v[\vQuotient]             // 
v_mul_f32 v[\vQuotient], 0x4f800000, v[\vQuotient] // 
v_cvt_u32_f32 v[\vQuotient], v[\vQuotient]         // 
v_mul_lo_u32 v[\vRemainder], v[\vDivisor], v[\vQuotient] // 
v_mul_hi_u32 v[\vTmp0], v[\vDivisor], v[\vQuotient] // 
_v_sub_co_u32 v[\vTmp1], vcc, 0x0, v[\vRemainder]  // 
v_cmp_ne_i32 s[\sTmp:\sTmp+1], 0x0, v[\vTmp0]      // 
v_cndmask_b32 v[\vRemainder], v[\vTmp1], v[\vRemainder], s[\sTmp:\sTmp+1] // 
v_mul_hi_u32 v[\vRemainder], v[\vRemainder], v[\vQuotient] // 
_v_sub_co_u32 v[\vTmp0], vcc, v[\vQuotient], v[\vRemainder] // 
_v_add_co_u32 v[\vQuotient], vcc, v[\vQuotient], v[\vRemainder] // 
v_cndmask_b32 v[\vQuotient], v[\vQuotient], v[\vTmp0], s[\sTmp:\sTmp+1] // 
v_mul_hi_u32 v[\vQuotient], v[\vQuotient], v[\vDividend] // 
v_mul_lo_u32 v[\vRemainder], v[\vQuotient], v[\vDivisor] // 
_v_sub_co_u32 v[\vTmp0], vcc, v[\vDividend], v[\vRemainder] // 
v_cmp_ge_u32 s[\sTmp:\sTmp+1], v[\vDividend], v[\vRemainder] // 
_v_add_co_u32 v[\vRemainder], vcc, 0x1, v[\vQuotient] // 
_v_add_co_u32 v[\vTmp1], vcc, -1, v[\vQuotient]    // 
v_cmp_le_u32 vcc, v[\vDivisor], v[\vTmp0]          // 
s_and_b64 vcc, s[\sTmp:\sTmp+1], vcc               // 
v_cndmask_b32 v[\vQuotient], v[\vQuotient], v[\vRemainder], vcc // 
v_cndmask_b32 v[\vQuotient], v[\vTmp1], v[\vQuotient], s[\sTmp:\sTmp+1] // 
v_cmp_ne_i32 vcc, 0x0, v[\vDivisor]                // 
v_cndmask_b32 v[\vQuotient], -1, v[\vQuotient], vcc // final result
v_mul_lo_u32 v[\vRemainder], v[\vQuotient], v[\vDivisor] // 
_v_sub_co_u32 v[\vRemainder], vcc, v[\vDividend], v[\vRemainder] // final result
.endm


	;; [unrolled: 1-line block ×3, first 2 shown]
/******************************************/
/* Allocate Resources                     */
/******************************************/

Cijk_Alik_Bljk_SB_MT128x64x16_MI16x16x4x1_SN_1LDSB1_APM1_AF0EM1_AF1EM1_AMAS3_ASE_ASGT_ASLT_ASM_ASAE01_ASCE01_ASEM1_BL0_BS0_CLR0_DTVA0_DTVB0_ETSP_EPS0_ELFLR0_EMLL0_FSSC10_FL0_GLVWA4_GLVWB4_GRCGA1_GRPM1_GRVW4_GSU1_GSUASB_GLS0_IU1_K1_LBSPPA128_LBSPPB128_LPA4_LPB4_LRVW1_LWPMn1_MIAV1_MKFGSU256_NTA0_NTB0_NTC3_NTD3_NEPBS0_NLCA1_NLCB1_ONLL1_PGR2_PLR5_PKA0_SIA3_SLW1_SS1_SU0_SUM0_SUS0_SPO1_SRVW0_SSO8_SVW2_TSGRA0_TSGRB0_TT2_64_TLDS1_UMLDSA1_UMLDSB1_USFGROn1_VAW1_VSn1_VW2_VWB1_VFLRP0_WSGRA0_WSGRB0_WG64_4_1_WGM36_preloaded: // Kernel start when preloading
s_setprio 3                                        // optimization store

/* Load Kernel Args */
_s_load_b512 s[8:23], s[sgprKernArgAddress:sgprKernArgAddress+1], 0x0 // 
_s_load_b256 s[24:31], s[sgprKernArgAddress:sgprKernArgAddress+1], 0x40 // 
_s_load_b128 s[32:35], s[sgprKernArgAddress:sgprKernArgAddress+1], 0x60 // 
_s_load_b64 s[36:37], s[sgprKernArgAddress:sgprKernArgAddress+1], 0x70 // 
_s_load_b32 s38, s[sgprKernArgAddress:sgprKernArgAddress+1], 0x78 // 
s_mov_b32 m0, 0x3600                               // LDS clamp at 13824 bytes
v_mov_b32 v[vgprSerial], v0                        // thread serial id

/******************************************/
/* Local Read Addresses                   */
/******************************************/


/* local read addresses: tile assignments a/b */

/*lr0I*/
v_and_b32 v1, 63, v[vgprSerial]                    // 0. thread id in wave: wtid = tid % wavelength(64)
v_and_b32 v0, 15, v1                               // 1. N offset: nIdx = wtid % MI_N(16)
v_lshlrev_b32 v0, 0x4, v0                          // 1. N offset: nOffset = nIdx * nStride(16)
                                                   // 2. block offset: bnIdx = bnIdx % num1DBlocks(1) is 0. do nothing
v_lshlrev_b32 v0, 0x1, v0                          // 4. apply VectorWidth: bnOffset = bnOffset * vw(2)
v_lshrrev_b32 v1, 4, v1                            // 5. K offset: kIdx = wtid / (MIN(16) * MIBB(1))
                                                   // 5. K offset: lrKOffset = kIdx * mStride(1) (multiplier is 1, do nothing)
_v_add_u32 v0, v1, v0                              // 6. offset in wave: lrOffset = bnOffset + lrKOffset
v_lshrrev_b32 v2, 6, v[vgprSerial]                 // 7. wave offset in N dimen: wtid = tid / dividedForWaveId(64)
v_and_b32 v1, 3, v2                                // 7. wave offset in M dimen: wtid0 = wtid / num1DWaves(4)
v_lshlrev_b32 v1, 0x9, v1                          // 7. wave offset in M dimen: wOffset = wtid0 * W0Stride(512)
_v_add_u32 v0, v1, v0                              // 8. final local read offset: flrOffset = lrOffset + WOffset
/*lr1J*/
v_and_b32 v2, 63, v[vgprSerial]                    // 0. thread id in wave: wtid = tid % wavelength(64)
v_and_b32 v1, 15, v2                               // 1. N offset: nIdx = wtid % MI_N(16)
v_lshlrev_b32 v1, 0x4, v1                          // 1. N offset: nOffset = nIdx * nStride(16)
                                                   // 2. block offset: bnIdx = bnIdx % num1DBlocks(1) is 0. do nothing
                                                   // 4. apply VectorWidth: bnOffset = bnOffset * vw(1) (multiplier is 1, do nothing)
v_lshrrev_b32 v2, 4, v2                            // 5. K offset: kIdx = wtid / (MIN(16) * MIBB(1))
                                                   // 5. K offset: lrKOffset = kIdx * mStride(1) (multiplier is 1, do nothing)
_v_add_u32 v1, v2, v1                              // 6. offset in wave: lrOffset = bnOffset + lrKOffset


/* local read addresses: final offsets a */

v_lshlrev_b32 v[vgprLocalReadAddrA], 0x2, v0       // Final Offset: offset = (lro0)*bpe
v_lshrrev_b32 v0, 7, v[vgprLocalReadAddrA]         // Final Offset: padding 4 per block 128
v_lshlrev_b32 v0, 0x4, v0                          // Final Offset: padding 4 per block 128
_v_add_u32 v[vgprLocalReadAddrA], v0, v[vgprLocalReadAddrA] // Final Offset: add padding 4 per block 128


/* local read addresses: final offsets b */

v_lshlrev_b32 v[vgprLocalReadAddrB], 0x2, v1       // Final Offset: offset = (lro1)*bpe
v_lshrrev_b32 v0, 7, v[vgprLocalReadAddrB]         // Final Offset: padding 4 per block 128
v_lshlrev_b32 v0, 0x4, v0                          // Final Offset: padding 4 per block 128
_v_add_u32 v[vgprLocalReadAddrB], v0, v[vgprLocalReadAddrB] // Final Offset: add padding 4 per block 128


/* local read addresses: declare addresses a */

/* N/A */


/* local read addresses: declare addresses b */

_v_add_co_u32 v[vgprLocalReadAddrB+0], vcc, 0x2400, v[vgprLocalReadAddrB+0] //  += LdsOffsetB (lower)
s_waitcnt lgkmcnt(0)                               // wait for 124 bytes of kern args


/* Short circuit condition if Alpha == 0, then sumDims=0 */
v_cmp_eq_f32 vcc, s[sgprAlpha], 0.0                // Alpha == 0.0f ?
s_cbranch_vccz label_AlphaNonZero                  // branch if alpha != 0
s_mov_b32 s[sgprSizesSum+0], 0x0                   // Set summation dim=0 if Alpha == 0
label_AlphaNonZero:


	;; [unrolled: 1-line block ×3, first 2 shown]
/******************************************/
/* Begin setupNewTile, isPap=False           */
/******************************************/


/* global read addresses: work-group */

/* graWorkGroup mapping */
s_mov_b32 s43, 0x38e38e4L                          // magic number for WGM==36
s_mul_hi_u32 s41, s[sgprWorkGroup1], s43           // s_magic mul
s_mul_i32 s40, s[sgprWorkGroup1], s43              // s_magic mul
s_lshr_b64 s[40:41], s[40:41], 31                  // sMagicDiv
s_mul_i32 s41, s40, 36                             // quotient * non-magic divisor
s_sub_u32 s41, s[sgprWorkGroup1], s41              // WorkGroup1=remainder
s_mul_i32 s41, s41, s[sgprNumWorkGroups0]          // (wg1 % WGM)*nwg0
s_add_u32 s41, s41, s[sgprWorkGroup0]              // wgSerial = wg0 + (wg1 % WGM)*nwg1
s_cmp_ge_u32 s40, s[sgprNumFullBlocks]             // blockId >= numFullBlocks ?
s_cmov_b32 s43, s[sgprMagicNumberWgmRemainder1]    // 
s_cselect_b32 s42, s[sgprWgmRemainder1], 36        // 
s_mul_hi_u32 s3, s41, s43                          // s_magic mul
s_mul_i32 s2, s41, s43                             // s_magic mul
s_lshr_b64 s[2:3], s[2:3], 31                      // sMagicDiv
s_mul_i32 s[sgprWorkGroup1], s[sgprWorkGroup0], s42 // quotient * non-magic divisor
s_sub_u32 s[sgprWorkGroup1], s41, s[sgprWorkGroup1] // WorkGroup1=remainder
s_mul_i32 s40, s40, 36                             // blockId * WGM
s_add_u32 s[sgprWorkGroup1], s[sgprWorkGroup1], s40 // wg1 += blockId * WGM


/* global read addresses: tile offset assignment a */

/* LVCA = 4 */
/* v2 = groA-tile = serial/LVCA + (wgA*MTA) */
/* v1 = groA-unroll = serial%LVCA */
v_lshrrev_b32 v0, 2, v[vgprSerial]                 // v0 = v[vgprSerial] / 4
v_and_b32 v1, 3, v[vgprSerial]                     // v1 = v[vgprSerial] % 4
/* gro-unroll *= glvw */
v_lshlrev_b32 v1, 0x2, v1                          // v1 = v1 * 4
v_lshlrev_b32 v3, 0x7, s[sgprWorkGroup0]           // v3 = s[sgprWorkGroup0] * 128
_v_add_co_u32 v2, vcc, v3, v0                      // groA-tile = serial/LVCA*VW + (wgA*MTA)


/* global read addresses: tile offset assignment b */

/* LVCB = 4 */
/* v5 = groB-tile = serial/LVCB + (wgB*MTB) */
/* v4 = groB-unroll = serial%LVCB */
v_lshrrev_b32 v3, 2, v[vgprSerial]                 // v3 = v[vgprSerial] / 4
v_and_b32 v4, 3, v[vgprSerial]                     // v4 = v[vgprSerial] % 4
/* gro-unroll *= glvw */
v_lshlrev_b32 v4, 0x2, v4                          // v4 = v4 * 4
v_lshlrev_b32 v6, 0x6, s[sgprWorkGroup1]           // v6 = s[sgprWorkGroup1] * 64
_v_add_co_u32 v5, vcc, v6, v3                      // groB-tile = serial/LVCB*VW + (wgB*MTB)


/* global read addresses: unroll assignment a */

/* v1 */


/* global read addresses: unroll assignment b */

/* v4 */


/* global read addresses: other free assignments */

/* s[sgprWorkGroup2] */


/* global read addresses: tile offsets a */

v_mov_b32 v6, v2                                   // groA0I_0
_v_add_co_u32 v7, vcc, 64, v6                      // groA0I_1 += LSPA


/* global read addresses: tile offsets b */

v_mov_b32 v2, v5                                   // groB1J_0


/* global read addresses: unroll offsets a */

v_mov_b32 v5, v1                                   // groAL_0


/* global read addresses: unroll offsets b */

v_mov_b32 v8, v4                                   // groBL_0


/* global read addresses: shift a */

s_sub_u32 s0, s[sgprSizeI], 1                      // edge = Size0I-1
v_mov_b32 v9, s0                                   // edge vgpr = Size0I-1
v_cmp_lt_u32 s[0:1], v6, v9                        // shiftedOffset < shiftedEdge
v_cndmask_b32 v6, v9, v6, s[0:1]                   // offset = (offset < edge) ? offset(v6) : edge(v9)
v_cmp_lt_u32 s[0:1], v7, v9                        // shiftedOffset < shiftedEdge
v_cndmask_b32 v7, v9, v7, s[0:1]                   // offset = (offset < edge) ? offset(v7) : edge(v9)


/* global read addresses: shift b */

s_sub_u32 s0, s[sgprSizeJ], 1                      // edge = Size1J-1
v_mov_b32 v9, s0                                   // edge vgpr = Size1J-1
v_cmp_lt_u32 s[0:1], v2, v9                        // shiftedOffset < shiftedEdge
v_cndmask_b32 v2, v9, v2, s[0:1]                   // offset = (offset < edge) ? offset(v2) : edge(v9)


/* global read addresses: final offsets a */

GLOBAL_OFFSET_A vgprGlobalReadAddrA+0,  5,  6, sgprWorkGroup2, 9 // gROA_0_0_0_0
GLOBAL_OFFSET_A vgprGlobalReadAddrA+2,  5,  7, sgprWorkGroup2, 9 // gROA_0_0_1_0


/* global read addresses: final offsets b */

GLOBAL_OFFSET_B vgprGlobalReadAddrB+0,  8,  2, sgprWorkGroup2, 5 // gROB_0_0_0_0


/* global read addresses: addresses a */

v_mov_b32 v5, s[sgprAddressA+0]                    // 
v_mov_b32 v6, s[sgprAddressA+1]                    // 
_v_add_co_u32 v[vgprGlobalReadAddrA+0+0], vcc, v[vgprGlobalReadAddrA+0+0], v5 // gRAA_0_0_0_0 = addrA+grOA_0_0_0_0 (lower)
_v_addc_co_u32 v[vgprGlobalReadAddrA+0+1], vcc, v[vgprGlobalReadAddrA+0+1], v6, vcc // gRAA_0_0_0_0 = addrA+grOA_0_0_0_0 (upper)
_v_add_co_u32 v[vgprGlobalReadAddrA+2+0], vcc, v[vgprGlobalReadAddrA+2+0], v5 // gRAA_0_0_1_0 = addrA+grOA_0_0_1_0 (lower)
_v_addc_co_u32 v[vgprGlobalReadAddrA+2+1], vcc, v[vgprGlobalReadAddrA+2+1], v6, vcc // gRAA_0_0_1_0 = addrA+grOA_0_0_1_0 (upper)


/* global read addresses: addresses b */

v_mov_b32 v5, s[sgprAddressB+0]                    // 
v_mov_b32 v6, s[sgprAddressB+1]                    // 
_v_add_co_u32 v[vgprGlobalReadAddrB+0+0], vcc, v[vgprGlobalReadAddrB+0+0], v5 // gRAB_0_0_0_0 = addrB+grOB_0_0_0_0 (lower)
_v_addc_co_u32 v[vgprGlobalReadAddrB+0+1], vcc, v[vgprGlobalReadAddrB+0+1], v6, vcc // gRAB_0_0_0_0 = addrB+grOB_0_0_0_0 (upper)


/* global read addresses: increments a */

s_mul_i32 s0, DepthU*4, constStrideAL              // incrAL = constStrideAL*DepthU*bpe (unrollIdx)
s_mov_b32 s1, 0x0                                  // (carry)
v_mov_b32 v[vgprGlobalReadIncsA+0+0], s0           // 
v_mov_b32 v[vgprGlobalReadIncsA+0+1], s1           // 


/* global read addresses: increments b */

s_mul_i32 s0, DepthU*4, constStrideBL              // incrBL = constStrideBL*DepthU*bpe (unrollIdx)
s_mov_b32 s1, 0x0                                  // (carry)
v_mov_b32 v[vgprGlobalReadIncsB+0+0], s0           // 
v_mov_b32 v[vgprGlobalReadIncsB+0+1], s1           // 


/******************************************/
/* Local Write Addresses                  */
/******************************************/

/* lwaTileAssignmentA = v0 */

/* lwaTileAssignmentB = v3 */

/* lwaUnrollAssignmentA = v1 */

/* lwaUnrollAssignmentB = v4 */


/* local write addresses: first offset a */

v_mul_u32_u24 v[vgprLocalWriteAddrA], 0x10, v0     // lwAL**(DepthU_Compute + PAD)
_v_add_lshl_u32 v[vgprLocalWriteAddrA], v1, v[vgprLocalWriteAddrA], 0x2 // lwFOA = (lwAA + lwAL*(DepthU+PAD))*bpe
v_lshrrev_b32 v1, 7, v[vgprLocalWriteAddrA]        // padding 4 per block 128
v_lshlrev_b32 v1, 0x4, v1                          // padding 4 per block 128
_v_add_u32 v[vgprLocalWriteAddrA], v1, v[vgprLocalWriteAddrA] // add padding 4 per block 128


/* local write addresses: first offset b */

v_mul_u32_u24 v[vgprLocalWriteAddrB], 0x10, v3     // lwBL**(DepthU_Compute + PAD)
_v_add_lshl_u32 v[vgprLocalWriteAddrB], v4, v[vgprLocalWriteAddrB], 0x2 // lwFOB = (lwBB + lwBL*(DepthU+PAD))*bpe
v_lshrrev_b32 v4, 7, v[vgprLocalWriteAddrB]        // padding 4 per block 128
v_lshlrev_b32 v4, 0x4, v4                          // padding 4 per block 128
_v_add_u32 v[vgprLocalWriteAddrB], v4, v[vgprLocalWriteAddrB] // add padding 4 per block 128
_v_add_co_u32 v[vgprLocalWriteAddrB], vcc, 0x2400, v[vgprLocalWriteAddrB] // lwFOB = lwB1J + lwBL*MT1J + LDS_OFFSET_B=2304*4







/* declare loop num iterations */


s_lshr_b32 s[sgprLoopCounterL], s[sgprSizesSum+0], 4 // s[sgprLoopCounterL] = s[sgprSizesSum+0] / 16
s_mov_b32 s[sgprOrigLoopCounter], s[sgprLoopCounterL] // copy loop counter

/* local read addresses: init pointers a */


/* localReadInitPointers */

/* local read addresses: init pointers b */


/* localReadInitPointers */


/* prefetch: global -> local */

s_cmp_eq_u32 s[sgprLoopCounterL], 0                // at last iteration?
s_setprio 0                                        // optimization store
s_cbranch_scc1 ShadowInitStart_10                  // skip to ShadowInitStart iter b/c numIter==0


_global_load_b128 v[vgprG2LA+0:vgprG2LA+0+3], v[vgprGlobalReadAddrA+0:vgprGlobalReadAddrA+0+1], off, offset:0 // G -> Reg 0_0_0_0
_global_load_b128 v[vgprG2LA+4:vgprG2LA+4+3], v[vgprGlobalReadAddrA+2:vgprGlobalReadAddrA+2+1], off, offset:0 // G -> Reg 0_0_1_0


_global_load_b128 v[vgprG2LB+0:vgprG2LB+0+3], v[vgprGlobalReadAddrB+0:vgprGlobalReadAddrB+0+1], off, offset:0 // G -> Reg 0_0_0_0


/* global read inc A loopL */
_v_add_co_u32  v[vgprGlobalReadAddrA+0+0], vcc, v[vgprGlobalReadAddrA+0+0], v[vgprGlobalReadIncsA+0+0] // gra += incAL (lower)
_v_addc_co_u32 v[vgprGlobalReadAddrA+0+1], vcc, v[vgprGlobalReadAddrA+0+1], v[vgprGlobalReadIncsA+0+1], vcc // gra += incAL (upper)
_v_add_co_u32  v[vgprGlobalReadAddrA+2+0], vcc, v[vgprGlobalReadAddrA+2+0], v[vgprGlobalReadIncsA+0+0] // gra += incAL (lower)
_v_addc_co_u32 v[vgprGlobalReadAddrA+2+1], vcc, v[vgprGlobalReadAddrA+2+1], v[vgprGlobalReadIncsA+0+1], vcc // gra += incAL (upper)

/* global read inc B loopL */
_v_add_co_u32  v[vgprGlobalReadAddrB+0+0], vcc, v[vgprGlobalReadAddrB+0+0], v[vgprGlobalReadIncsB+0+0] // gra += incBL (lower)
_v_addc_co_u32 v[vgprGlobalReadAddrB+0+1], vcc, v[vgprGlobalReadAddrB+0+1], v[vgprGlobalReadIncsB+0+1], vcc // gra += incBL (upper)


/******************************************/
/* End setupNewTile, isPap=False             */
/******************************************/

ShadowInitStart_10: // 


	;; [unrolled: 1-line block ×3, first 2 shown]
/* initC: remove C-tile 0-32 from pool */

/* initC: remove AB-tile 32-56 from pool */
v_mov_b64 v[vgprValuC+0:vgprValuC+0+1], 0x0        // initC
v_mov_b64 v[vgprValuC+2:vgprValuC+2+1], 0x0        // initC
	;; [unrolled: 1-line block ×5, first 2 shown]
v_mov_b64 v[vgprValuC+10:vgprValuC+10+1], 0x0      // initC
v_mov_b64 v[vgprValuC+12:vgprValuC+12+1], 0x0      // initC
v_mov_b64 v[vgprValuC+14:vgprValuC+14+1], 0x0      // initC
v_mov_b64 v[vgprValuC+16:vgprValuC+16+1], 0x0      // initC
v_mov_b64 v[vgprValuC+18:vgprValuC+18+1], 0x0      // initC
v_mov_b64 v[vgprValuC+20:vgprValuC+20+1], 0x0      // initC
v_mov_b64 v[vgprValuC+22:vgprValuC+22+1], 0x0      // initC
v_mov_b64 v[vgprValuC+24:vgprValuC+24+1], 0x0      // initC
v_mov_b64 v[vgprValuC+26:vgprValuC+26+1], 0x0      // initC
v_mov_b64 v[vgprValuC+28:vgprValuC+28+1], 0x0      // initC
v_mov_b64 v[vgprValuC+30:vgprValuC+30+1], 0x0      // initC

s_cmp_eq_u32 s[sgprLoopCounterL], 0                // at last iteration?

/* after InitC, skip to end of prefetch last iter if numIter==0 */
s_cbranch_scc0 label_NoBranch_11                   // Only branch on scc1
s_getpc_B64 s[40:41]                               // addr of next instr
s_add_i32 s42, PrefetchGlobalLastIterEnd_5, 0x4    // target branch offset
s_add_u32 s40, s40, s42                            // add target branch offset
s_addc_u32 s41, s41, 0                             // add high and carry
s_setpc_b64 s[40:41]                               // branch to PrefetchGlobalLastIterEnd_5
label_NoBranch_11:

s_waitcnt vmcnt(0)                                 // lgkmcnt=-1 vmcnt=0 8wait for global read


/* local write a */
_ds_store_b128 v[vgprLocalWriteAddrA], v[vgprG2LA+0:vgprG2LA+0+3] offset:0 // lwoA_0_0_0_0 = (0*LSCA)*(MT0I+PAD) + (0*LSPA) = 0
_ds_store_b128 v[vgprLocalWriteAddrA], v[vgprG2LA+4:vgprG2LA+4+3] offset:4608 // lwoA_0_0_1_0 = (0*LSCA)*(MT0I+PAD) + (1*LSPA) = 4608

/* local write b */
_ds_store_b128 v[vgprLocalWriteAddrB], v[vgprG2LB+0:vgprG2LB+0+3] offset:0 // lwoB_0_0_0_0 = (0*LSCB)*(MT1J+PAD) + (0*LSPB) = 0


/* local write swap a */


	;; [unrolled: 1-line block ×3, first 2 shown]
/* local write swap b */


	;; [unrolled: 1-line block ×4, first 2 shown]
s_cmp_eq_u32 s[sgprLoopCounterL] 0x1               // PGR=2 but only 1 loop
s_cbranch_scc1 label_0012                          // PGR=2 but only 1 loop


_global_load_b128 v[vgprG2LA+0:vgprG2LA+0+3], v[vgprGlobalReadAddrA+0:vgprGlobalReadAddrA+0+1], off, offset:0 // G -> Reg 0_0_0_0
_global_load_b128 v[vgprG2LA+4:vgprG2LA+4+3], v[vgprGlobalReadAddrA+2:vgprGlobalReadAddrA+2+1], off, offset:0 // G -> Reg 0_0_1_0


_global_load_b128 v[vgprG2LB+0:vgprG2LB+0+3], v[vgprGlobalReadAddrB+0:vgprGlobalReadAddrB+0+1], off, offset:0 // G -> Reg 0_0_0_0

label_0012:                                        // 

s_waitcnt lgkmcnt(0)                               // lgkmcnt=0 vmcnt=-10prefetch wait for local write

// Skip force waitcnt0
s_barrier //


/* local read prefetch a */

_ds_load_b32 v[vgprValuA_X0_I0+0], v[vgprLocalReadAddrA] offset:0 // L -> Reg lro=0 swapByteOffset=0 ti=128 vIdx=0 rIdx=0 oIdx=0 buffer=0 iui=0
_ds_load_b32 v[vgprValuA_X0_I0+1], v[vgprLocalReadAddrA] offset:64 // L -> Reg lro=0 swapByteOffset=0 ti=128 vIdx=0 rIdx=0 oIdx=0 buffer=0 iui=0


/* local read prefetch b */

_ds_load_b32 v[vgprValuB_X0_I0+0], v[vgprLocalReadAddrB] offset:0 // L -> Reg lro=0 swapByteOffset=0 ti=16 vIdx=0 rIdx=0 oIdx=0 buffer=0 iui=0
_ds_load_b32 v[vgprValuB_X0_I0+1], v[vgprLocalReadAddrB] offset:1152 // L -> Reg lro=0 swapByteOffset=0 ti=16 vIdx=1 rIdx=0 oIdx=0 buffer=0 iui=0
	;; [unrolled: 1-line block ×4, first 2 shown]


/* local read inc a */

/* N/A, lro->4 */
/* self.localReadDoCntA 1 self.localReadDoCntB 1 */


/* local read inc b */

/* N/A, lro->4 */
/* self.localReadDoCntA 1 self.localReadDoCntB 1 */


	;; [unrolled: 1-line block ×3, first 2 shown]
/******************************************/
/* Unrolled Loop(s) - Begin               */
/******************************************/

openLoopL_13:
s_cmp_eq_u32 s[sgprLoopCounterL], 0x1              // LoopCounterL < EndCounter
s_cbranch_scc1 label_0014                          // PGR=2 but only 1 loop, toPGR1
s_cmp_le_u32 s[sgprLoopCounterL], 0x2              // LoopCounterL < EndCounter
s_cbranch_scc1 LoopEndL_2                          // do not enter LoopL
LoopBeginL_1:


/******************************************/
/* Unrolled Loop 1/1 - Begin              */
/******************************************/

label_0015: // LoopCopy1 


/* Begin Each Unroll: Check VGPR.checkin for INT8 LW */


	;; [unrolled: 1-line block ×3, first 2 shown]
/* iter 0 */

/*  grEndMfmaIndex:2, lwStartMfmaIndex:12, lwEndMfmaIndex:25  */
/*  numMfmaForLR:4, barrierMfmaIndex:27, LocalWritePerMfma:0.160 */
/*  mfmaIndex:0  */
s_waitcnt lgkmcnt(0)                               // lgkmcnt=0 vmcnt=-1wait for prior local read local write old=0, new=0 newLW=0 newLR=0
v_mfma_f32_16x16x4_f32 v[0+0:3+0], v[vgprValuB_X0_I0+0+0+0], v[vgprValuA_X0_I0+0+0+0], v[0:3]
/*  mfmaIndex:1  */
_ds_load_b32 v[vgprValuA_X1_I0+0], v[vgprLocalReadAddrA] offset:16 // L -> Reg lro=4 swapByteOffset=0 ti=128 vIdx=0 rIdx=0 oIdx=0 buffer=1 iui=0
_ds_load_b32 v[vgprValuB_X1_I0+0], v[vgprLocalReadAddrB] offset:16 // L -> Reg lro=4 swapByteOffset=0 ti=16 vIdx=0 rIdx=0 oIdx=0 buffer=1 iui=0

/* global read inc A loopL */
_v_add_co_u32  v[vgprGlobalReadAddrA+0+0], vcc, v[vgprGlobalReadAddrA+0+0], v[vgprGlobalReadIncsA+0+0] // gra += incAL (lower)
_v_addc_co_u32 v[vgprGlobalReadAddrA+0+1], vcc, v[vgprGlobalReadAddrA+0+1], v[vgprGlobalReadIncsA+0+1], vcc // gra += incAL (upper)
_v_add_co_u32  v[vgprGlobalReadAddrA+2+0], vcc, v[vgprGlobalReadAddrA+2+0], v[vgprGlobalReadIncsA+0+0] // gra += incAL (lower)
v_mfma_f32_16x16x4_f32 v[4+0:7+0], v[vgprValuB_X0_I0+0+0+0], v[vgprValuA_X0_I0+1+0+0], v[4:7]
/*  mfmaIndex:2  */
_ds_load_b32 v[vgprValuA_X1_I0+1], v[vgprLocalReadAddrA] offset:80 // L -> Reg lro=4 swapByteOffset=0 ti=128 vIdx=0 rIdx=0 oIdx=0 buffer=1 iui=0
_ds_load_b32 v[vgprValuB_X1_I0+1], v[vgprLocalReadAddrB] offset:1168 // L -> Reg lro=4 swapByteOffset=0 ti=16 vIdx=1 rIdx=0 oIdx=0 buffer=1 iui=0
_v_addc_co_u32 v[vgprGlobalReadAddrA+2+1], vcc, v[vgprGlobalReadAddrA+2+1], v[vgprGlobalReadIncsA+0+1], vcc // gra += incAL (upper)

/* global read inc B loopL */
_v_add_co_u32  v[vgprGlobalReadAddrB+0+0], vcc, v[vgprGlobalReadAddrB+0+0], v[vgprGlobalReadIncsB+0+0] // gra += incBL (lower)
_v_addc_co_u32 v[vgprGlobalReadAddrB+0+1], vcc, v[vgprGlobalReadAddrB+0+1], v[vgprGlobalReadIncsB+0+1], vcc // gra += incBL (upper)
v_mfma_f32_16x16x4_f32 v[12+0:15+0], v[vgprValuB_X0_I0+1+0+0], v[vgprValuA_X0_I0+1+0+0], v[12:15]
/*  mfmaIndex:3  */
_ds_load_b32 v[vgprValuB_X1_I0+2], v[vgprLocalReadAddrB] offset:2320 // L -> Reg lro=4 swapByteOffset=0 ti=16 vIdx=2 rIdx=0 oIdx=0 buffer=1 iui=0
_ds_load_b32 v[vgprValuB_X1_I0+3], v[vgprLocalReadAddrB] offset:3472 // L -> Reg lro=4 swapByteOffset=0 ti=16 vIdx=3 rIdx=0 oIdx=0 buffer=1 iui=0
/* localReadsVacancy: latencyLeft 1 */
v_mfma_f32_16x16x4_f32 v[8+0:11+0], v[vgprValuB_X0_I0+1+0+0], v[vgprValuA_X0_I0+0+0+0], v[8:11]
/*  mfmaIndex:4  */
/* localReadsVacancy: latencyLeft 5 */
_ds_load_b32 v[vgprValuA_X2_I0+0], v[vgprLocalReadAddrA] offset:32 // L -> Reg lro=8 swapByteOffset=0 ti=128 vIdx=0 rIdx=0 oIdx=0 buffer=2 iui=0
_ds_load_b32 v[vgprValuB_X2_I0+0], v[vgprLocalReadAddrB] offset:32 // L -> Reg lro=8 swapByteOffset=0 ti=16 vIdx=0 rIdx=0 oIdx=0 buffer=2 iui=0
v_mfma_f32_16x16x4_f32 v[16+0:19+0], v[vgprValuB_X0_I0+2+0+0], v[vgprValuA_X0_I0+0+0+0], v[16:19]
/*  mfmaIndex:5  */
/* localReadsVacancy: latencyLeft 5 */
_ds_load_b32 v[vgprValuA_X2_I0+1], v[vgprLocalReadAddrA] offset:96 // L -> Reg lro=8 swapByteOffset=0 ti=128 vIdx=0 rIdx=0 oIdx=0 buffer=2 iui=0
_ds_load_b32 v[vgprValuB_X2_I0+1], v[vgprLocalReadAddrB] offset:1184 // L -> Reg lro=8 swapByteOffset=0 ti=16 vIdx=1 rIdx=0 oIdx=0 buffer=2 iui=0
v_mfma_f32_16x16x4_f32 v[20+0:23+0], v[vgprValuB_X0_I0+2+0+0], v[vgprValuA_X0_I0+1+0+0], v[20:23]
/*  mfmaIndex:6  */
/* localReadsVacancy: latencyLeft 5 */
_ds_load_b32 v[vgprValuB_X2_I0+2], v[vgprLocalReadAddrB] offset:2336 // L -> Reg lro=8 swapByteOffset=0 ti=16 vIdx=2 rIdx=0 oIdx=0 buffer=2 iui=0
_ds_load_b32 v[vgprValuB_X2_I0+3], v[vgprLocalReadAddrB] offset:3488 // L -> Reg lro=8 swapByteOffset=0 ti=16 vIdx=3 rIdx=0 oIdx=0 buffer=2 iui=0
v_mfma_f32_16x16x4_f32 v[28+0:31+0], v[vgprValuB_X0_I0+3+0+0], v[vgprValuA_X0_I0+1+0+0], v[28:31]
/*  mfmaIndex:7  */
/* localReadsVacancy: latencyLeft 5 */
_ds_load_b32 v[vgprValuA_X3_I0+0], v[vgprLocalReadAddrA] offset:48 // L -> Reg lro=12 swapByteOffset=0 ti=128 vIdx=0 rIdx=0 oIdx=0 buffer=3 iui=0
_ds_load_b32 v[vgprValuB_X3_I0+0], v[vgprLocalReadAddrB] offset:48 // L -> Reg lro=12 swapByteOffset=0 ti=16 vIdx=0 rIdx=0 oIdx=0 buffer=3 iui=0
v_mfma_f32_16x16x4_f32 v[24+0:27+0], v[vgprValuB_X0_I0+3+0+0], v[vgprValuA_X0_I0+0+0+0], v[24:27]
/* numPrefetchIter=0 */
/* dataAtIterA=-1 numReadsIterA=1 skipReadsIterA=1 readsPerIterA=2 */
/* dataAtIterB=-1 numReadsIterB=1 skipReadsIterB=1 readsPerIterB=4 */


/* iter 1 */

/*  grEndMfmaIndex:2, lwStartMfmaIndex:12, lwEndMfmaIndex:25  */
/*  numMfmaForLR:4, barrierMfmaIndex:27, LocalWritePerMfma:0.160 */
/*  mfmaIndex:8  */
/* localReadsVacancy: latencyLeft 5 */
_ds_load_b32 v[vgprValuA_X3_I0+1], v[vgprLocalReadAddrA] offset:112 // L -> Reg lro=12 swapByteOffset=0 ti=128 vIdx=0 rIdx=0 oIdx=0 buffer=3 iui=0
_ds_load_b32 v[vgprValuB_X3_I0+1], v[vgprLocalReadAddrB] offset:1200 // L -> Reg lro=12 swapByteOffset=0 ti=16 vIdx=1 rIdx=0 oIdx=0 buffer=3 iui=0
s_waitcnt lgkmcnt(10)                              // lgkmcnt=0 vmcnt=-1wait for prior local read local write old=6, new=6 newLW=0 newLR=0
v_mfma_f32_16x16x4_f32 v[0+0:3+0], v[vgprValuB_X1_I0+0+0+0], v[vgprValuA_X1_I0+0+0+0], v[0:3]
/*  mfmaIndex:9  */
/* localReadsVacancy: latencyLeft 5 */
_ds_load_b32 v[vgprValuB_X3_I0+2], v[vgprLocalReadAddrB] offset:2352 // L -> Reg lro=12 swapByteOffset=0 ti=16 vIdx=2 rIdx=0 oIdx=0 buffer=3 iui=0
_ds_load_b32 v[vgprValuB_X3_I0+3], v[vgprLocalReadAddrB] offset:3504 // L -> Reg lro=12 swapByteOffset=0 ti=16 vIdx=3 rIdx=0 oIdx=0 buffer=3 iui=0
v_mfma_f32_16x16x4_f32 v[4+0:7+0], v[vgprValuB_X1_I0+0+0+0], v[vgprValuA_X1_I0+1+0+0], v[4:7]
/*  mfmaIndex:10  */
/* localReadsVacancy: latencyLeft 5 */
v_mfma_f32_16x16x4_f32 v[12+0:15+0], v[vgprValuB_X1_I0+1+0+0], v[vgprValuA_X1_I0+1+0+0], v[12:15]
/*  mfmaIndex:11  */
/* localReadsVacancy: latencyLeft 5 */
/* 1 LDS buffer: read-sync-write */
s_waitcnt lgkmcnt(0)                               // 
s_barrier                                          // 
v_mfma_f32_16x16x4_f32 v[8+0:11+0], v[vgprValuB_X1_I0+1+0+0], v[vgprValuA_X1_I0+0+0+0], v[8:11]
/*  mfmaIndex:12  */
s_setprio 3                                        // store optimization
/* sched write - iter 1 writesPerItem=1 */
s_waitcnt vmcnt(0)                                 // lgkmcnt=-1 vmcnt=0wait for global read before writing to local
_ds_store_b128 v[vgprLocalWriteAddrA], v[vgprG2LA+0:vgprG2LA+0+3] offset:0 // lwoA_0_0_0_0 = (0*LSCA)*(MT0I+PAD) + (0*LSPA) = 0
v_mfma_f32_16x16x4_f32 v[16+0:19+0], v[vgprValuB_X1_I0+2+0+0], v[vgprValuA_X1_I0+0+0+0], v[16:19]
/*  mfmaIndex:13  */
_global_load_b128 v[vgprG2LA+0:vgprG2LA+0+3], v[vgprGlobalReadAddrA+0:vgprGlobalReadAddrA+0+1], off, offset:0 // G -> Reg 0_0_0_0
v_mfma_f32_16x16x4_f32 v[20+0:23+0], v[vgprValuB_X1_I0+2+0+0], v[vgprValuA_X1_I0+1+0+0], v[20:23]
/*  mfmaIndex:14  */
v_mfma_f32_16x16x4_f32 v[28+0:31+0], v[vgprValuB_X1_I0+3+0+0], v[vgprValuA_X1_I0+1+0+0], v[28:31]
/*  mfmaIndex:15  */
v_mfma_f32_16x16x4_f32 v[24+0:27+0], v[vgprValuB_X1_I0+3+0+0], v[vgprValuA_X1_I0+0+0+0], v[24:27]
/* numPrefetchIter=0 */
/* dataAtIterA=0 numReadsIterA=2 skipReadsIterA=1 readsPerIterA=2 */
/* dataAtIterB=0 numReadsIterB=2 skipReadsIterB=1 readsPerIterB=4 */


/* iter 2 (reset local read pointers iteration)  (swap local read pointers iteration)  */

/*  grEndMfmaIndex:2, lwStartMfmaIndex:12, lwEndMfmaIndex:25  */
/*  numMfmaForLR:4, barrierMfmaIndex:27, LocalWritePerMfma:0.160 */
/*  mfmaIndex:16  */
v_mfma_f32_16x16x4_f32 v[0+0:3+0], v[vgprValuB_X2_I0+0+0+0], v[vgprValuA_X2_I0+0+0+0], v[0:3]
/*  mfmaIndex:17  */
v_mfma_f32_16x16x4_f32 v[4+0:7+0], v[vgprValuB_X2_I0+0+0+0], v[vgprValuA_X2_I0+1+0+0], v[4:7]
/*  mfmaIndex:18  */
/* sched write - iter 2 writesPerItem=1 */
s_waitcnt vmcnt(0)                                 // lgkmcnt=-1 vmcnt=0wait for global read before writing to local
_ds_store_b128 v[vgprLocalWriteAddrA], v[vgprG2LA+4:vgprG2LA+4+3] offset:4608 // lwoA_0_0_1_0 = (0*LSCA)*(MT0I+PAD) + (1*LSPA) = 4608
v_mfma_f32_16x16x4_f32 v[12+0:15+0], v[vgprValuB_X2_I0+1+0+0], v[vgprValuA_X2_I0+1+0+0], v[12:15]
/*  mfmaIndex:19  */
_global_load_b128 v[vgprG2LA+4:vgprG2LA+4+3], v[vgprGlobalReadAddrA+2:vgprGlobalReadAddrA+2+1], off, offset:0 // G -> Reg 0_0_1_0
v_mfma_f32_16x16x4_f32 v[8+0:11+0], v[vgprValuB_X2_I0+1+0+0], v[vgprValuA_X2_I0+0+0+0], v[8:11]
/*  mfmaIndex:20  */
v_mfma_f32_16x16x4_f32 v[16+0:19+0], v[vgprValuB_X2_I0+2+0+0], v[vgprValuA_X2_I0+0+0+0], v[16:19]
/*  mfmaIndex:21  */
	;; [unrolled: 2-line block ×4, first 2 shown]

/* local read swap offsets a */

/* local read swap offsets b */

/* local read init pointers a */

/* localReadInitPointers */

/* local read init pointers b */

/* localReadInitPointers */
v_mfma_f32_16x16x4_f32 v[24+0:27+0], v[vgprValuB_X2_I0+3+0+0], v[vgprValuA_X2_I0+0+0+0], v[24:27]


/* iter 3 (swap and reset local write pointers iteration)  */

/*  grEndMfmaIndex:2, lwStartMfmaIndex:12, lwEndMfmaIndex:25  */
/*  numMfmaForLR:4, barrierMfmaIndex:27, LocalWritePerMfma:0.160 */
/*  mfmaIndex:24  */
/* sched write - iter 3 writesPerItem=1 */
s_waitcnt vmcnt(0)                                 // lgkmcnt=-1 vmcnt=0wait for global read before writing to local
_ds_store_b128 v[vgprLocalWriteAddrB], v[vgprG2LB+0:vgprG2LB+0+3] offset:0 // lwoB_0_0_0_0 = (0*LSCB)*(MT1J+PAD) + (0*LSPB) = 0
v_mfma_f32_16x16x4_f32 v[0+0:3+0], v[vgprValuB_X3_I0+0+0+0], v[vgprValuA_X3_I0+0+0+0], v[0:3]
/*  mfmaIndex:25  */
_global_load_b128 v[vgprG2LB+0:vgprG2LB+0+3], v[vgprGlobalReadAddrB+0:vgprGlobalReadAddrB+0+1], off, offset:0 // G -> Reg 0_0_0_0

/* local write swap offsets a */

/* local write swap offsets b */
v_mfma_f32_16x16x4_f32 v[4+0:7+0], v[vgprValuB_X3_I0+0+0+0], v[vgprValuA_X3_I0+1+0+0], v[4:7]
/*  mfmaIndex:26  */
v_mfma_f32_16x16x4_f32 v[12+0:15+0], v[vgprValuB_X3_I0+1+0+0], v[vgprValuA_X3_I0+1+0+0], v[12:15]
s_setprio 0                                        // store optimization
/*  mfmaIndex:27  */
s_waitcnt lgkmcnt(0)                               // lgkmcnt=0 vmcnt=-13wait for local write
// Skip force waitcnt0
s_barrier //
v_mfma_f32_16x16x4_f32 v[8+0:11+0], v[vgprValuB_X3_I0+1+0+0], v[vgprValuA_X3_I0+0+0+0], v[8:11]
/*  mfmaIndex:28  */
s_setprio 3                                        // store optimization
_ds_load_b32 v[vgprValuA_X0_I0+0], v[vgprLocalReadAddrA] offset:0 // L -> Reg lro=0 swapByteOffset=0 ti=128 vIdx=0 rIdx=0 oIdx=0 buffer=0 iui=0
_ds_load_b32 v[vgprValuB_X0_I0+0], v[vgprLocalReadAddrB] offset:0 // L -> Reg lro=0 swapByteOffset=0 ti=16 vIdx=0 rIdx=0 oIdx=0 buffer=0 iui=0
v_mfma_f32_16x16x4_f32 v[16+0:19+0], v[vgprValuB_X3_I0+2+0+0], v[vgprValuA_X3_I0+0+0+0], v[16:19]
/*  mfmaIndex:29  */
_ds_load_b32 v[vgprValuA_X0_I0+1], v[vgprLocalReadAddrA] offset:64 // L -> Reg lro=0 swapByteOffset=0 ti=128 vIdx=0 rIdx=0 oIdx=0 buffer=0 iui=0
_ds_load_b32 v[vgprValuB_X0_I0+1], v[vgprLocalReadAddrB] offset:1152 // L -> Reg lro=0 swapByteOffset=0 ti=16 vIdx=1 rIdx=0 oIdx=0 buffer=0 iui=0
v_mfma_f32_16x16x4_f32 v[20+0:23+0], v[vgprValuB_X3_I0+2+0+0], v[vgprValuA_X3_I0+1+0+0], v[20:23]
/*  mfmaIndex:30  */
_ds_load_b32 v[vgprValuB_X0_I0+2], v[vgprLocalReadAddrB] offset:2304 // L -> Reg lro=0 swapByteOffset=0 ti=16 vIdx=2 rIdx=0 oIdx=0 buffer=0 iui=0
_ds_load_b32 v[vgprValuB_X0_I0+3], v[vgprLocalReadAddrB] offset:3456 // L -> Reg lro=0 swapByteOffset=0 ti=16 vIdx=3 rIdx=0 oIdx=0 buffer=0 iui=0
v_mfma_f32_16x16x4_f32 v[28+0:31+0], v[vgprValuB_X3_I0+3+0+0], v[vgprValuA_X3_I0+1+0+0], v[28:31]
/*  mfmaIndex:31  */
v_mfma_f32_16x16x4_f32 v[24+0:27+0], v[vgprValuB_X3_I0+3+0+0], v[vgprValuA_X3_I0+0+0+0], v[24:27]
s_setprio 0                                        // store optimization


/******************************************/
/* Unrolled Loop - End                    */
/******************************************/


/* closeLoop loopL finalLoop=1 tailLoop=0 */
s_sub_u32 s[sgprLoopCounterL], s[sgprLoopCounterL], 1 // dec counterL
s_cmp_eq_i32 s[sgprLoopCounterL], 0x2              // counterL==2
s_cbranch_scc0 LoopBeginL_1                        // restart LoopL
LoopEndL_2:


/* Before NLL: Check VGPR.checkin for INT8 LW */


/******************************************/
/* Ord. NoGlobalLoadLoop - Begin                                      */
/******************************************/


	;; [unrolled: 1-line block ×3, first 2 shown]
/* iter 0 */

/*  grEndMfmaIndex:2, lwStartMfmaIndex:12, lwEndMfmaIndex:25  */
/*  numMfmaForLR:4, barrierMfmaIndex:27, LocalWritePerMfma:0.160 */
/*  mfmaIndex:0  */
s_waitcnt lgkmcnt(0)                               // lgkmcnt=0 vmcnt=-1wait for prior local read local write old=0, new=0 newLW=0 newLR=0
v_mfma_f32_16x16x4_f32 v[0+0:3+0], v[vgprValuB_X0_I0+0+0+0], v[vgprValuA_X0_I0+0+0+0], v[0:3]
/*  mfmaIndex:1  */
_ds_load_b32 v[vgprValuA_X1_I0+0], v[vgprLocalReadAddrA] offset:16 // L -> Reg lro=4 swapByteOffset=0 ti=128 vIdx=0 rIdx=0 oIdx=0 buffer=1 iui=0
_ds_load_b32 v[vgprValuB_X1_I0+0], v[vgprLocalReadAddrB] offset:16 // L -> Reg lro=4 swapByteOffset=0 ti=16 vIdx=0 rIdx=0 oIdx=0 buffer=1 iui=0

/* global read inc A loopL */
_v_add_co_u32  v[vgprGlobalReadAddrA+0+0], vcc, v[vgprGlobalReadAddrA+0+0], v[vgprGlobalReadIncsA+0+0] // gra += incAL (lower)
_v_addc_co_u32 v[vgprGlobalReadAddrA+0+1], vcc, v[vgprGlobalReadAddrA+0+1], v[vgprGlobalReadIncsA+0+1], vcc // gra += incAL (upper)
_v_add_co_u32  v[vgprGlobalReadAddrA+2+0], vcc, v[vgprGlobalReadAddrA+2+0], v[vgprGlobalReadIncsA+0+0] // gra += incAL (lower)
v_mfma_f32_16x16x4_f32 v[4+0:7+0], v[vgprValuB_X0_I0+0+0+0], v[vgprValuA_X0_I0+1+0+0], v[4:7]
/*  mfmaIndex:2  */
_ds_load_b32 v[vgprValuA_X1_I0+1], v[vgprLocalReadAddrA] offset:80 // L -> Reg lro=4 swapByteOffset=0 ti=128 vIdx=0 rIdx=0 oIdx=0 buffer=1 iui=0
_ds_load_b32 v[vgprValuB_X1_I0+1], v[vgprLocalReadAddrB] offset:1168 // L -> Reg lro=4 swapByteOffset=0 ti=16 vIdx=1 rIdx=0 oIdx=0 buffer=1 iui=0
_v_addc_co_u32 v[vgprGlobalReadAddrA+2+1], vcc, v[vgprGlobalReadAddrA+2+1], v[vgprGlobalReadIncsA+0+1], vcc // gra += incAL (upper)

/* global read inc B loopL */
_v_add_co_u32  v[vgprGlobalReadAddrB+0+0], vcc, v[vgprGlobalReadAddrB+0+0], v[vgprGlobalReadIncsB+0+0] // gra += incBL (lower)
_v_addc_co_u32 v[vgprGlobalReadAddrB+0+1], vcc, v[vgprGlobalReadAddrB+0+1], v[vgprGlobalReadIncsB+0+1], vcc // gra += incBL (upper)
v_mfma_f32_16x16x4_f32 v[12+0:15+0], v[vgprValuB_X0_I0+1+0+0], v[vgprValuA_X0_I0+1+0+0], v[12:15]
/*  mfmaIndex:3  */
_ds_load_b32 v[vgprValuB_X1_I0+2], v[vgprLocalReadAddrB] offset:2320 // L -> Reg lro=4 swapByteOffset=0 ti=16 vIdx=2 rIdx=0 oIdx=0 buffer=1 iui=0
_ds_load_b32 v[vgprValuB_X1_I0+3], v[vgprLocalReadAddrB] offset:3472 // L -> Reg lro=4 swapByteOffset=0 ti=16 vIdx=3 rIdx=0 oIdx=0 buffer=1 iui=0
/* localReadsVacancy: latencyLeft 1 */
v_mfma_f32_16x16x4_f32 v[8+0:11+0], v[vgprValuB_X0_I0+1+0+0], v[vgprValuA_X0_I0+0+0+0], v[8:11]
/*  mfmaIndex:4  */
/* localReadsVacancy: latencyLeft 5 */
_ds_load_b32 v[vgprValuA_X2_I0+0], v[vgprLocalReadAddrA] offset:32 // L -> Reg lro=8 swapByteOffset=0 ti=128 vIdx=0 rIdx=0 oIdx=0 buffer=2 iui=0
_ds_load_b32 v[vgprValuB_X2_I0+0], v[vgprLocalReadAddrB] offset:32 // L -> Reg lro=8 swapByteOffset=0 ti=16 vIdx=0 rIdx=0 oIdx=0 buffer=2 iui=0
v_mfma_f32_16x16x4_f32 v[16+0:19+0], v[vgprValuB_X0_I0+2+0+0], v[vgprValuA_X0_I0+0+0+0], v[16:19]
/*  mfmaIndex:5  */
/* localReadsVacancy: latencyLeft 5 */
_ds_load_b32 v[vgprValuA_X2_I0+1], v[vgprLocalReadAddrA] offset:96 // L -> Reg lro=8 swapByteOffset=0 ti=128 vIdx=0 rIdx=0 oIdx=0 buffer=2 iui=0
_ds_load_b32 v[vgprValuB_X2_I0+1], v[vgprLocalReadAddrB] offset:1184 // L -> Reg lro=8 swapByteOffset=0 ti=16 vIdx=1 rIdx=0 oIdx=0 buffer=2 iui=0
v_mfma_f32_16x16x4_f32 v[20+0:23+0], v[vgprValuB_X0_I0+2+0+0], v[vgprValuA_X0_I0+1+0+0], v[20:23]
/*  mfmaIndex:6  */
/* localReadsVacancy: latencyLeft 5 */
_ds_load_b32 v[vgprValuB_X2_I0+2], v[vgprLocalReadAddrB] offset:2336 // L -> Reg lro=8 swapByteOffset=0 ti=16 vIdx=2 rIdx=0 oIdx=0 buffer=2 iui=0
_ds_load_b32 v[vgprValuB_X2_I0+3], v[vgprLocalReadAddrB] offset:3488 // L -> Reg lro=8 swapByteOffset=0 ti=16 vIdx=3 rIdx=0 oIdx=0 buffer=2 iui=0
v_mfma_f32_16x16x4_f32 v[28+0:31+0], v[vgprValuB_X0_I0+3+0+0], v[vgprValuA_X0_I0+1+0+0], v[28:31]
/*  mfmaIndex:7  */
/* localReadsVacancy: latencyLeft 5 */
_ds_load_b32 v[vgprValuA_X3_I0+0], v[vgprLocalReadAddrA] offset:48 // L -> Reg lro=12 swapByteOffset=0 ti=128 vIdx=0 rIdx=0 oIdx=0 buffer=3 iui=0
_ds_load_b32 v[vgprValuB_X3_I0+0], v[vgprLocalReadAddrB] offset:48 // L -> Reg lro=12 swapByteOffset=0 ti=16 vIdx=0 rIdx=0 oIdx=0 buffer=3 iui=0
v_mfma_f32_16x16x4_f32 v[24+0:27+0], v[vgprValuB_X0_I0+3+0+0], v[vgprValuA_X0_I0+0+0+0], v[24:27]
/* numPrefetchIter=0 */
/* dataAtIterA=-1 numReadsIterA=1 skipReadsIterA=1 readsPerIterA=2 */
/* dataAtIterB=-1 numReadsIterB=1 skipReadsIterB=1 readsPerIterB=4 */


/* iter 1 */

/*  grEndMfmaIndex:2, lwStartMfmaIndex:12, lwEndMfmaIndex:25  */
/*  numMfmaForLR:4, barrierMfmaIndex:27, LocalWritePerMfma:0.160 */
/*  mfmaIndex:8  */
/* localReadsVacancy: latencyLeft 5 */
_ds_load_b32 v[vgprValuA_X3_I0+1], v[vgprLocalReadAddrA] offset:112 // L -> Reg lro=12 swapByteOffset=0 ti=128 vIdx=0 rIdx=0 oIdx=0 buffer=3 iui=0
_ds_load_b32 v[vgprValuB_X3_I0+1], v[vgprLocalReadAddrB] offset:1200 // L -> Reg lro=12 swapByteOffset=0 ti=16 vIdx=1 rIdx=0 oIdx=0 buffer=3 iui=0
s_waitcnt lgkmcnt(10)                              // lgkmcnt=0 vmcnt=-1wait for prior local read local write old=6, new=6 newLW=0 newLR=0
v_mfma_f32_16x16x4_f32 v[0+0:3+0], v[vgprValuB_X1_I0+0+0+0], v[vgprValuA_X1_I0+0+0+0], v[0:3]
/*  mfmaIndex:9  */
/* localReadsVacancy: latencyLeft 5 */
_ds_load_b32 v[vgprValuB_X3_I0+2], v[vgprLocalReadAddrB] offset:2352 // L -> Reg lro=12 swapByteOffset=0 ti=16 vIdx=2 rIdx=0 oIdx=0 buffer=3 iui=0
_ds_load_b32 v[vgprValuB_X3_I0+3], v[vgprLocalReadAddrB] offset:3504 // L -> Reg lro=12 swapByteOffset=0 ti=16 vIdx=3 rIdx=0 oIdx=0 buffer=3 iui=0
v_mfma_f32_16x16x4_f32 v[4+0:7+0], v[vgprValuB_X1_I0+0+0+0], v[vgprValuA_X1_I0+1+0+0], v[4:7]
/*  mfmaIndex:10  */
/* localReadsVacancy: latencyLeft 5 */
v_mfma_f32_16x16x4_f32 v[12+0:15+0], v[vgprValuB_X1_I0+1+0+0], v[vgprValuA_X1_I0+1+0+0], v[12:15]
/*  mfmaIndex:11  */
/* localReadsVacancy: latencyLeft 5 */
/* 1 LDS buffer: read-sync-write */
s_waitcnt lgkmcnt(0)                               // 
s_barrier                                          // 
v_mfma_f32_16x16x4_f32 v[8+0:11+0], v[vgprValuB_X1_I0+1+0+0], v[vgprValuA_X1_I0+0+0+0], v[8:11]
/*  mfmaIndex:12  */
s_setprio 3                                        // store optimization
/* sched write - iter 1 writesPerItem=1 */
s_waitcnt vmcnt(0)                                 // lgkmcnt=-1 vmcnt=0wait for global read before writing to local
_ds_store_b128 v[vgprLocalWriteAddrA], v[vgprG2LA+0:vgprG2LA+0+3] offset:0 // lwoA_0_0_0_0 = (0*LSCA)*(MT0I+PAD) + (0*LSPA) = 0
v_mfma_f32_16x16x4_f32 v[16+0:19+0], v[vgprValuB_X1_I0+2+0+0], v[vgprValuA_X1_I0+0+0+0], v[16:19]
/*  mfmaIndex:13  */
v_mfma_f32_16x16x4_f32 v[20+0:23+0], v[vgprValuB_X1_I0+2+0+0], v[vgprValuA_X1_I0+1+0+0], v[20:23]
/*  mfmaIndex:14  */
	;; [unrolled: 2-line block ×3, first 2 shown]
v_mfma_f32_16x16x4_f32 v[24+0:27+0], v[vgprValuB_X1_I0+3+0+0], v[vgprValuA_X1_I0+0+0+0], v[24:27]
/* numPrefetchIter=0 */
/* dataAtIterA=0 numReadsIterA=2 skipReadsIterA=1 readsPerIterA=2 */
/* dataAtIterB=0 numReadsIterB=2 skipReadsIterB=1 readsPerIterB=4 */


/* iter 2 (reset local read pointers iteration)  (swap local read pointers iteration)  */

/*  grEndMfmaIndex:2, lwStartMfmaIndex:12, lwEndMfmaIndex:25  */
/*  numMfmaForLR:4, barrierMfmaIndex:27, LocalWritePerMfma:0.160 */
/*  mfmaIndex:16  */
v_mfma_f32_16x16x4_f32 v[0+0:3+0], v[vgprValuB_X2_I0+0+0+0], v[vgprValuA_X2_I0+0+0+0], v[0:3]
/*  mfmaIndex:17  */
v_mfma_f32_16x16x4_f32 v[4+0:7+0], v[vgprValuB_X2_I0+0+0+0], v[vgprValuA_X2_I0+1+0+0], v[4:7]
/*  mfmaIndex:18  */
/* sched write - iter 2 writesPerItem=1 */
s_waitcnt vmcnt(0)                                 // lgkmcnt=-1 vmcnt=0wait for global read before writing to local
_ds_store_b128 v[vgprLocalWriteAddrA], v[vgprG2LA+4:vgprG2LA+4+3] offset:4608 // lwoA_0_0_1_0 = (0*LSCA)*(MT0I+PAD) + (1*LSPA) = 4608
v_mfma_f32_16x16x4_f32 v[12+0:15+0], v[vgprValuB_X2_I0+1+0+0], v[vgprValuA_X2_I0+1+0+0], v[12:15]
/*  mfmaIndex:19  */
v_mfma_f32_16x16x4_f32 v[8+0:11+0], v[vgprValuB_X2_I0+1+0+0], v[vgprValuA_X2_I0+0+0+0], v[8:11]
/*  mfmaIndex:20  */
	;; [unrolled: 2-line block ×5, first 2 shown]

/* local read swap offsets a */

/* local read swap offsets b */

/* local read init pointers a */

/* localReadInitPointers */

/* local read init pointers b */

/* localReadInitPointers */
v_mfma_f32_16x16x4_f32 v[24+0:27+0], v[vgprValuB_X2_I0+3+0+0], v[vgprValuA_X2_I0+0+0+0], v[24:27]


/* iter 3 (swap and reset local write pointers iteration)  */

/*  grEndMfmaIndex:2, lwStartMfmaIndex:12, lwEndMfmaIndex:25  */
/*  numMfmaForLR:4, barrierMfmaIndex:27, LocalWritePerMfma:0.160 */
/*  mfmaIndex:24  */
/* sched write - iter 3 writesPerItem=1 */
s_waitcnt vmcnt(0)                                 // lgkmcnt=-1 vmcnt=0wait for global read before writing to local
_ds_store_b128 v[vgprLocalWriteAddrB], v[vgprG2LB+0:vgprG2LB+0+3] offset:0 // lwoB_0_0_0_0 = (0*LSCB)*(MT1J+PAD) + (0*LSPB) = 0
v_mfma_f32_16x16x4_f32 v[0+0:3+0], v[vgprValuB_X3_I0+0+0+0], v[vgprValuA_X3_I0+0+0+0], v[0:3]
/*  mfmaIndex:25  */

/* local write swap offsets a */

/* local write swap offsets b */
v_mfma_f32_16x16x4_f32 v[4+0:7+0], v[vgprValuB_X3_I0+0+0+0], v[vgprValuA_X3_I0+1+0+0], v[4:7]
/*  mfmaIndex:26  */
v_mfma_f32_16x16x4_f32 v[12+0:15+0], v[vgprValuB_X3_I0+1+0+0], v[vgprValuA_X3_I0+1+0+0], v[12:15]
s_setprio 0                                        // store optimization
/*  mfmaIndex:27  */
s_waitcnt lgkmcnt(0)                               // lgkmcnt=0 vmcnt=-13wait for local write
// Skip force waitcnt0
s_barrier //
v_mfma_f32_16x16x4_f32 v[8+0:11+0], v[vgprValuB_X3_I0+1+0+0], v[vgprValuA_X3_I0+0+0+0], v[8:11]
/*  mfmaIndex:28  */
s_setprio 3                                        // store optimization
_ds_load_b32 v[vgprValuA_X0_I0+0], v[vgprLocalReadAddrA] offset:0 // L -> Reg lro=0 swapByteOffset=0 ti=128 vIdx=0 rIdx=0 oIdx=0 buffer=0 iui=0
_ds_load_b32 v[vgprValuB_X0_I0+0], v[vgprLocalReadAddrB] offset:0 // L -> Reg lro=0 swapByteOffset=0 ti=16 vIdx=0 rIdx=0 oIdx=0 buffer=0 iui=0
v_mfma_f32_16x16x4_f32 v[16+0:19+0], v[vgprValuB_X3_I0+2+0+0], v[vgprValuA_X3_I0+0+0+0], v[16:19]
/*  mfmaIndex:29  */
_ds_load_b32 v[vgprValuA_X0_I0+1], v[vgprLocalReadAddrA] offset:64 // L -> Reg lro=0 swapByteOffset=0 ti=128 vIdx=0 rIdx=0 oIdx=0 buffer=0 iui=0
_ds_load_b32 v[vgprValuB_X0_I0+1], v[vgprLocalReadAddrB] offset:1152 // L -> Reg lro=0 swapByteOffset=0 ti=16 vIdx=1 rIdx=0 oIdx=0 buffer=0 iui=0
v_mfma_f32_16x16x4_f32 v[20+0:23+0], v[vgprValuB_X3_I0+2+0+0], v[vgprValuA_X3_I0+1+0+0], v[20:23]
/*  mfmaIndex:30  */
_ds_load_b32 v[vgprValuB_X0_I0+2], v[vgprLocalReadAddrB] offset:2304 // L -> Reg lro=0 swapByteOffset=0 ti=16 vIdx=2 rIdx=0 oIdx=0 buffer=0 iui=0
_ds_load_b32 v[vgprValuB_X0_I0+3], v[vgprLocalReadAddrB] offset:3456 // L -> Reg lro=0 swapByteOffset=0 ti=16 vIdx=3 rIdx=0 oIdx=0 buffer=0 iui=0
v_mfma_f32_16x16x4_f32 v[28+0:31+0], v[vgprValuB_X3_I0+3+0+0], v[vgprValuA_X3_I0+1+0+0], v[28:31]
/*  mfmaIndex:31  */
v_mfma_f32_16x16x4_f32 v[24+0:27+0], v[vgprValuB_X3_I0+3+0+0], v[vgprValuA_X3_I0+0+0+0], v[24:27]
s_setprio 0                                        // store optimization

label_0014:


/******************************************/
/* Ord. NoLoadLoop - Begin                                      */
/******************************************/


	;; [unrolled: 1-line block ×4, first 2 shown]
/* iter 0 (last unrolled loop) */

/*  grEndMfmaIndex:0, lwStartMfmaIndex:25, lwEndMfmaIndex:25  */
/*  numMfmaForLR:4, barrierMfmaIndex:27, LocalWritePerMfma:0.160 */
/*  mfmaIndex:0  */
s_waitcnt lgkmcnt(0)                               // lgkmcnt=0 vmcnt=-1wait for prior local read local write old=0, new=0 newLW=0 newLR=0
v_mfma_f32_16x16x4_f32 v[0+0:3+0], v[vgprValuB_X0_I0+0+0+0], v[vgprValuA_X0_I0+0+0+0], v[0:3]
/*  mfmaIndex:1  */
_ds_load_b32 v[vgprValuA_X1_I0+0], v[vgprLocalReadAddrA] offset:16 // L -> Reg lro=4 swapByteOffset=0 ti=128 vIdx=0 rIdx=0 oIdx=0 buffer=1 iui=0
_ds_load_b32 v[vgprValuB_X1_I0+0], v[vgprLocalReadAddrB] offset:16 // L -> Reg lro=4 swapByteOffset=0 ti=16 vIdx=0 rIdx=0 oIdx=0 buffer=1 iui=0
v_mfma_f32_16x16x4_f32 v[4+0:7+0], v[vgprValuB_X0_I0+0+0+0], v[vgprValuA_X0_I0+1+0+0], v[4:7]
/*  mfmaIndex:2  */
_ds_load_b32 v[vgprValuA_X1_I0+1], v[vgprLocalReadAddrA] offset:80 // L -> Reg lro=4 swapByteOffset=0 ti=128 vIdx=0 rIdx=0 oIdx=0 buffer=1 iui=0
_ds_load_b32 v[vgprValuB_X1_I0+1], v[vgprLocalReadAddrB] offset:1168 // L -> Reg lro=4 swapByteOffset=0 ti=16 vIdx=1 rIdx=0 oIdx=0 buffer=1 iui=0
v_mfma_f32_16x16x4_f32 v[12+0:15+0], v[vgprValuB_X0_I0+1+0+0], v[vgprValuA_X0_I0+1+0+0], v[12:15]
/*  mfmaIndex:3  */
_ds_load_b32 v[vgprValuB_X1_I0+2], v[vgprLocalReadAddrB] offset:2320 // L -> Reg lro=4 swapByteOffset=0 ti=16 vIdx=2 rIdx=0 oIdx=0 buffer=1 iui=0
_ds_load_b32 v[vgprValuB_X1_I0+3], v[vgprLocalReadAddrB] offset:3472 // L -> Reg lro=4 swapByteOffset=0 ti=16 vIdx=3 rIdx=0 oIdx=0 buffer=1 iui=0
/* localReadsVacancy: latencyLeft 1 */
v_mfma_f32_16x16x4_f32 v[8+0:11+0], v[vgprValuB_X0_I0+1+0+0], v[vgprValuA_X0_I0+0+0+0], v[8:11]
/*  mfmaIndex:4  */
/* localReadsVacancy: latencyLeft 5 */
_ds_load_b32 v[vgprValuA_X2_I0+0], v[vgprLocalReadAddrA] offset:32 // L -> Reg lro=8 swapByteOffset=0 ti=128 vIdx=0 rIdx=0 oIdx=0 buffer=2 iui=0
_ds_load_b32 v[vgprValuB_X2_I0+0], v[vgprLocalReadAddrB] offset:32 // L -> Reg lro=8 swapByteOffset=0 ti=16 vIdx=0 rIdx=0 oIdx=0 buffer=2 iui=0
v_mfma_f32_16x16x4_f32 v[16+0:19+0], v[vgprValuB_X0_I0+2+0+0], v[vgprValuA_X0_I0+0+0+0], v[16:19]
/*  mfmaIndex:5  */
/* localReadsVacancy: latencyLeft 5 */
_ds_load_b32 v[vgprValuA_X2_I0+1], v[vgprLocalReadAddrA] offset:96 // L -> Reg lro=8 swapByteOffset=0 ti=128 vIdx=0 rIdx=0 oIdx=0 buffer=2 iui=0
_ds_load_b32 v[vgprValuB_X2_I0+1], v[vgprLocalReadAddrB] offset:1184 // L -> Reg lro=8 swapByteOffset=0 ti=16 vIdx=1 rIdx=0 oIdx=0 buffer=2 iui=0
v_mfma_f32_16x16x4_f32 v[20+0:23+0], v[vgprValuB_X0_I0+2+0+0], v[vgprValuA_X0_I0+1+0+0], v[20:23]
/*  mfmaIndex:6  */
/* localReadsVacancy: latencyLeft 5 */
_ds_load_b32 v[vgprValuB_X2_I0+2], v[vgprLocalReadAddrB] offset:2336 // L -> Reg lro=8 swapByteOffset=0 ti=16 vIdx=2 rIdx=0 oIdx=0 buffer=2 iui=0
_ds_load_b32 v[vgprValuB_X2_I0+3], v[vgprLocalReadAddrB] offset:3488 // L -> Reg lro=8 swapByteOffset=0 ti=16 vIdx=3 rIdx=0 oIdx=0 buffer=2 iui=0
v_mfma_f32_16x16x4_f32 v[28+0:31+0], v[vgprValuB_X0_I0+3+0+0], v[vgprValuA_X0_I0+1+0+0], v[28:31]
/*  mfmaIndex:7  */
/* localReadsVacancy: latencyLeft 5 */
_ds_load_b32 v[vgprValuA_X3_I0+0], v[vgprLocalReadAddrA] offset:48 // L -> Reg lro=12 swapByteOffset=0 ti=128 vIdx=0 rIdx=0 oIdx=0 buffer=3 iui=0
_ds_load_b32 v[vgprValuB_X3_I0+0], v[vgprLocalReadAddrB] offset:48 // L -> Reg lro=12 swapByteOffset=0 ti=16 vIdx=0 rIdx=0 oIdx=0 buffer=3 iui=0
v_mfma_f32_16x16x4_f32 v[24+0:27+0], v[vgprValuB_X0_I0+3+0+0], v[vgprValuA_X0_I0+0+0+0], v[24:27]
/* numPrefetchIter=0 */
/* dataAtIterA=-1 numReadsIterA=1 skipReadsIterA=1 readsPerIterA=2 */
/* dataAtIterB=-1 numReadsIterB=1 skipReadsIterB=1 readsPerIterB=4 */


/* iter 1 (last unrolled loop) */

/*  grEndMfmaIndex:0, lwStartMfmaIndex:25, lwEndMfmaIndex:25  */
/*  numMfmaForLR:4, barrierMfmaIndex:27, LocalWritePerMfma:0.160 */
/*  mfmaIndex:8  */
/* localReadsVacancy: latencyLeft 5 */
_ds_load_b32 v[vgprValuA_X3_I0+1], v[vgprLocalReadAddrA] offset:112 // L -> Reg lro=12 swapByteOffset=0 ti=128 vIdx=0 rIdx=0 oIdx=0 buffer=3 iui=0
_ds_load_b32 v[vgprValuB_X3_I0+1], v[vgprLocalReadAddrB] offset:1200 // L -> Reg lro=12 swapByteOffset=0 ti=16 vIdx=1 rIdx=0 oIdx=0 buffer=3 iui=0
s_waitcnt lgkmcnt(10)                              // lgkmcnt=0 vmcnt=-1wait for prior local read local write old=6, new=6 newLW=0 newLR=0
v_mfma_f32_16x16x4_f32 v[0+0:3+0], v[vgprValuB_X1_I0+0+0+0], v[vgprValuA_X1_I0+0+0+0], v[0:3]
/*  mfmaIndex:9  */
/* localReadsVacancy: latencyLeft 5 */
_ds_load_b32 v[vgprValuB_X3_I0+2], v[vgprLocalReadAddrB] offset:2352 // L -> Reg lro=12 swapByteOffset=0 ti=16 vIdx=2 rIdx=0 oIdx=0 buffer=3 iui=0
_ds_load_b32 v[vgprValuB_X3_I0+3], v[vgprLocalReadAddrB] offset:3504 // L -> Reg lro=12 swapByteOffset=0 ti=16 vIdx=3 rIdx=0 oIdx=0 buffer=3 iui=0
v_mfma_f32_16x16x4_f32 v[4+0:7+0], v[vgprValuB_X1_I0+0+0+0], v[vgprValuA_X1_I0+1+0+0], v[4:7]
/*  mfmaIndex:10  */
/* localReadsVacancy: latencyLeft 5 */
v_mfma_f32_16x16x4_f32 v[12+0:15+0], v[vgprValuB_X1_I0+1+0+0], v[vgprValuA_X1_I0+1+0+0], v[12:15]
/*  mfmaIndex:11  */
/* localReadsVacancy: latencyLeft 5 */
	;; [unrolled: 3-line block ×6, first 2 shown]
v_mfma_f32_16x16x4_f32 v[24+0:27+0], v[vgprValuB_X1_I0+3+0+0], v[vgprValuA_X1_I0+0+0+0], v[24:27]
/* numPrefetchIter=0 */
/* dataAtIterA=0 numReadsIterA=2 skipReadsIterA=1 readsPerIterA=2 */
/* dataAtIterB=0 numReadsIterB=2 skipReadsIterB=1 readsPerIterB=4 */


/* iter 2 (last unrolled loop) */

/*  grEndMfmaIndex:0, lwStartMfmaIndex:25, lwEndMfmaIndex:25  */
/*  numMfmaForLR:4, barrierMfmaIndex:27, LocalWritePerMfma:0.160 */
/*  mfmaIndex:16  */
/* localReadsVacancy: latencyLeft 5 */
s_waitcnt lgkmcnt(4)                               // lgkmcnt=0 vmcnt=-1wait for prior local read local write old=4, new=4 newLW=0 newLR=0
v_mfma_f32_16x16x4_f32 v[0+0:3+0], v[vgprValuB_X2_I0+0+0+0], v[vgprValuA_X2_I0+0+0+0], v[0:3]
/*  mfmaIndex:17  */
/* localReadsVacancy: latencyLeft 5 */
v_mfma_f32_16x16x4_f32 v[4+0:7+0], v[vgprValuB_X2_I0+0+0+0], v[vgprValuA_X2_I0+1+0+0], v[4:7]
/*  mfmaIndex:18  */
/* localReadsVacancy: latencyLeft 5 */
	;; [unrolled: 3-line block ×7, first 2 shown]
v_mfma_f32_16x16x4_f32 v[24+0:27+0], v[vgprValuB_X2_I0+3+0+0], v[vgprValuA_X2_I0+0+0+0], v[24:27]
/* numPrefetchIter=0 */
/* dataAtIterA=1 numReadsIterA=3 skipReadsIterA=1 readsPerIterA=2 */
/* dataAtIterB=1 numReadsIterB=3 skipReadsIterB=1 readsPerIterB=4 */


/* iter 3 (last unrolled loop) */

/*  grEndMfmaIndex:0, lwStartMfmaIndex:25, lwEndMfmaIndex:25  */
/*  numMfmaForLR:4, barrierMfmaIndex:27, LocalWritePerMfma:0.160 */
/*  mfmaIndex:24  */
/* 1 LDS buffer: read-sync-write */
s_waitcnt lgkmcnt(0)                               // 
s_barrier                                          // 
s_waitcnt lgkmcnt(0)                               // lgkmcnt=0 vmcnt=-1wait for prior local read local write old=0, new=0 newLW=0 newLR=0
v_mfma_f32_16x16x4_f32 v[0+0:3+0], v[vgprValuB_X3_I0+0+0+0], v[vgprValuA_X3_I0+0+0+0], v[0:3]
/*  mfmaIndex:25  */
s_setprio 3                                        // store optimization
v_mfma_f32_16x16x4_f32 v[4+0:7+0], v[vgprValuB_X3_I0+0+0+0], v[vgprValuA_X3_I0+1+0+0], v[4:7]
/*  mfmaIndex:26  */
v_mfma_f32_16x16x4_f32 v[12+0:15+0], v[vgprValuB_X3_I0+1+0+0], v[vgprValuA_X3_I0+1+0+0], v[12:15]
s_setprio 0                                        // store optimization
/*  mfmaIndex:27  */
v_mfma_f32_16x16x4_f32 v[8+0:11+0], v[vgprValuB_X3_I0+1+0+0], v[vgprValuA_X3_I0+0+0+0], v[8:11]
/*  mfmaIndex:28  */
s_setprio 3                                        // store optimization
v_mfma_f32_16x16x4_f32 v[16+0:19+0], v[vgprValuB_X3_I0+2+0+0], v[vgprValuA_X3_I0+0+0+0], v[16:19]
/*  mfmaIndex:29  */
v_mfma_f32_16x16x4_f32 v[20+0:23+0], v[vgprValuB_X3_I0+2+0+0], v[vgprValuA_X3_I0+1+0+0], v[20:23]
/*  mfmaIndex:30  */
	;; [unrolled: 2-line block ×3, first 2 shown]
v_mfma_f32_16x16x4_f32 v[24+0:27+0], v[vgprValuB_X3_I0+3+0+0], v[vgprValuA_X3_I0+0+0+0], v[24:27]
/* numPrefetchIter=0 */
/* dataAtIterA=2 numReadsIterA=3 skipReadsIterA=0 readsPerIterA=2 */
/* dataAtIterB=2 numReadsIterB=3 skipReadsIterB=0 readsPerIterB=4 */

PrefetchGlobalLastIterEnd_5:


/******************************************/
/* Tail Loop                              */
/******************************************/


/* local write reset offsets a */


	;; [unrolled: 1-line block ×3, first 2 shown]
/* local write reset offsets b */


	;; [unrolled: 1-line block ×3, first 2 shown]
//numIterL = (((sizeL % LOCAL_DEPTHU) + LOCAL_SPLITU - 1) / LOCAL_SPLITU)
s_and_b32 s[sgprLoopCounterL], 15, s[sgprSizesSum+0] // s[sgprLoopCounterL] = s[sgprSizesSum+0] % 16
s_cmp_eq_u32 s[sgprLoopCounterL], 0x0              // numIterL == 0
s_cbranch_scc1 SkipTailLoopL_8                     // skip to end of tail loop b/c numIter==0
s_mov_b32 s[sgprOrigLoopCounter], 0                // repurpose to count each localRead increment


/* Update M0 for DTLDS */


	;; [unrolled: 1-line block ×3, first 2 shown]
/* global read a */

/* global addressing - max read address = Tensor2dSizeA */
s_mul_hi_u32 s1, s[sgprWorkGroup2], s[sgprStrideAK] // 64b tensorA size in elements
s_mul_i32 s0, s[sgprWorkGroup2], s[sgprStrideAK]   // 64b tensorA size in elements
s_add_u32 s0, s[sgprTensor2dSizeA], s0             // add Tensor2dSizeA
s_addc_u32 s1, s[sgprTensor2dSizeA+1], s1          // add Tensor2dSizeA
s_lshl_b64 s[0:1], s[0:1], 0x2                     // <- tensorA size in bytes
s_add_u32 s0, s16, s0                              // prepend address lower
s_addc_u32 s1, s17, s1                             // prepend address upper
v_mov_b32 v84, s0                                  // sgpr->vgpr
v_mov_b32 v85, s1                                  // sgpr->vgpr
s_mov_b64 s[0:1], 0xFFFFFFFFFFFFFFFF               // to restore all threads active
v_mov_b32 v83, 0x4                                 // bpe*numElementsPerLoad
v_mov_b32 v86, 0x0                                 // zero
/* g2l=0, load component 0 */
_v_cmpx_lt_u64 vcc, v[vgprGlobalReadAddrA+0:vgprGlobalReadAddrA+0+1], v[84:85] // addr < maxAddr
_global_load_b32 v[vgprG2LA+0+0], v[vgprGlobalReadAddrA+0:vgprGlobalReadAddrA+0+1], off, offset:0 // load one global value
s_or_saveexec_b64 vcc, s[0:1]                      // all threads active
_v_add_co_u32 v[vgprGlobalReadAddrA+0+0], vcc, v[vgprGlobalReadAddrA+0+0], v83 // gra += 1 (lower)
_v_addc_co_u32 v[vgprGlobalReadAddrA+0+1], vcc, v[vgprGlobalReadAddrA+0+1], v86, vcc // gra += 1 (upper)
/* g2l=0, load component 1 */
_v_cmpx_lt_u64 vcc, v[vgprGlobalReadAddrA+0:vgprGlobalReadAddrA+0+1], v[84:85] // addr < maxAddr
_global_load_b32 v[vgprG2LA+0+1], v[vgprGlobalReadAddrA+0:vgprGlobalReadAddrA+0+1], off, offset:0 // load one global value
s_or_saveexec_b64 vcc, s[0:1]                      // all threads active
_v_add_co_u32 v[vgprGlobalReadAddrA+0+0], vcc, v[vgprGlobalReadAddrA+0+0], v83 // gra += 1 (lower)
_v_addc_co_u32 v[vgprGlobalReadAddrA+0+1], vcc, v[vgprGlobalReadAddrA+0+1], v86, vcc // gra += 1 (upper)
	;; [unrolled: 6-line block ×8, first 2 shown]


/* Update M0 for DTLDS */


	;; [unrolled: 1-line block ×3, first 2 shown]
/* global read b */

/* global addressing - max read address = Tensor2dSizeB */
s_mul_hi_u32 s1, s[sgprWorkGroup2], s[sgprStrideBK] // 64b tensorB size in elements
s_mul_i32 s0, s[sgprWorkGroup2], s[sgprStrideBK]   // 64b tensorB size in elements
s_add_u32 s0, s[sgprTensor2dSizeB], s0             // add Tensor2dSizeB
s_addc_u32 s1, s[sgprTensor2dSizeB+1], s1          // add Tensor2dSizeB
s_lshl_b64 s[0:1], s[0:1], 0x2                     // <- tensorB size in bytes
s_add_u32 s0, s18, s0                              // prepend address lower
s_addc_u32 s1, s19, s1                             // prepend address upper
v_mov_b32 v84, s0                                  // sgpr->vgpr
v_mov_b32 v85, s1                                  // sgpr->vgpr
s_mov_b64 s[0:1], 0xFFFFFFFFFFFFFFFF               // to restore all threads active
v_mov_b32 v83, 0x4                                 // bpe*numElementsPerLoad
v_mov_b32 v86, 0x0                                 // zero
/* g2l=0, load component 0 */
_v_cmpx_lt_u64 vcc, v[vgprGlobalReadAddrB+0:vgprGlobalReadAddrB+0+1], v[84:85] // addr < maxAddr
_global_load_b32 v[vgprG2LB+0+0], v[vgprGlobalReadAddrB+0:vgprGlobalReadAddrB+0+1], off, offset:0 // load one global value
s_or_saveexec_b64 vcc, s[0:1]                      // all threads active
_v_add_co_u32 v[vgprGlobalReadAddrB+0+0], vcc, v[vgprGlobalReadAddrB+0+0], v83 // gra += 1 (lower)
_v_addc_co_u32 v[vgprGlobalReadAddrB+0+1], vcc, v[vgprGlobalReadAddrB+0+1], v86, vcc // gra += 1 (upper)
/* g2l=0, load component 1 */
_v_cmpx_lt_u64 vcc, v[vgprGlobalReadAddrB+0:vgprGlobalReadAddrB+0+1], v[84:85] // addr < maxAddr
_global_load_b32 v[vgprG2LB+0+1], v[vgprGlobalReadAddrB+0:vgprGlobalReadAddrB+0+1], off, offset:0 // load one global value
s_or_saveexec_b64 vcc, s[0:1]                      // all threads active
_v_add_co_u32 v[vgprGlobalReadAddrB+0+0], vcc, v[vgprGlobalReadAddrB+0+0], v83 // gra += 1 (lower)
_v_addc_co_u32 v[vgprGlobalReadAddrB+0+1], vcc, v[vgprGlobalReadAddrB+0+1], v86, vcc // gra += 1 (upper)
/* g2l=0, load component 2 */
_v_cmpx_lt_u64 vcc, v[vgprGlobalReadAddrB+0:vgprGlobalReadAddrB+0+1], v[84:85] // addr < maxAddr
_global_load_b32 v[vgprG2LB+0+2], v[vgprGlobalReadAddrB+0:vgprGlobalReadAddrB+0+1], off, offset:0 // load one global value
s_or_saveexec_b64 vcc, s[0:1]                      // all threads active
_v_add_co_u32 v[vgprGlobalReadAddrB+0+0], vcc, v[vgprGlobalReadAddrB+0+0], v83 // gra += 1 (lower)
_v_addc_co_u32 v[vgprGlobalReadAddrB+0+1], vcc, v[vgprGlobalReadAddrB+0+1], v86, vcc // gra += 1 (upper)
/* g2l=0, load component 3 */
_v_cmpx_lt_u64 vcc, v[vgprGlobalReadAddrB+0:vgprGlobalReadAddrB+0+1], v[84:85] // addr < maxAddr
_global_load_b32 v[vgprG2LB+0+3], v[vgprGlobalReadAddrB+0:vgprGlobalReadAddrB+0+1], off, offset:0 // load one global value
s_or_saveexec_b64 vcc, s[0:1]                      // all threads active
_v_add_co_u32 v[vgprGlobalReadAddrB+0+0], vcc, v[vgprGlobalReadAddrB+0+0], v83 // gra += 1 (lower)
_v_addc_co_u32 v[vgprGlobalReadAddrB+0+1], vcc, v[vgprGlobalReadAddrB+0+1], v86, vcc // gra += 1 (upper)

s_waitcnt vmcnt(0)                                 // lgkmcnt=-1 vmcnt=02wait for global read

// Skip force waitcnt0
s_barrier //


/* Done global A/B reads */


	;; [unrolled: 1-line block ×4, first 2 shown]
/* local write a */

_ds_store_b128 v[vgprLocalWriteAddrA], v[vgprG2LA+0:vgprG2LA+0+3] offset:0 // lwoA_0_0_0_0 = (0*LSCA)*(MT0I+PAD) + (0*LSPA) = 0
_ds_store_b128 v[vgprLocalWriteAddrA], v[vgprG2LA+4:vgprG2LA+4+3] offset:4608 // lwoA_0_0_1_0 = (0*LSCA)*(MT0I+PAD) + (1*LSPA) = 4608


/* local write b */

_ds_store_b128 v[vgprLocalWriteAddrB], v[vgprG2LB+0:vgprG2LB+0+3] offset:0 // lwoB_0_0_0_0 = (0*LSCB)*(MT1J+PAD) + (0*LSPB) = 0


/* Recalc local read offsets */


s_waitcnt lgkmcnt(0)                               // lgkmcnt=0 vmcnt=-15wait for local write

// Skip force waitcnt0
s_barrier //


/* local read reset offsets a */


	;; [unrolled: 1-line block ×3, first 2 shown]
/* local read reset offsets b */


	;; [unrolled: 1-line block ×3, first 2 shown]
/* local read init pointers a */


/* localReadInitPointers */


/* local read init pointers b */


/* localReadInitPointers */


/* tail loop: macs */

TailLoopBeginL_6:


/* tail loop unroll iter 0 */


/* local read a */

_ds_load_b32 v[vgprValuA_X0_I0+0], v[vgprLocalReadAddrA] offset:0 // L -> Reg lro=0 swapByteOffset=0 ti=128 vIdx=0 rIdx=0 oIdx=0 buffer=0 iui=0
_ds_load_b32 v[vgprValuA_X0_I0+1], v[vgprLocalReadAddrA] offset:64 // L -> Reg lro=0 swapByteOffset=0 ti=128 vIdx=0 rIdx=0 oIdx=0 buffer=0 iui=0


/* local read b */

_ds_load_b32 v[vgprValuB_X0_I0+0], v[vgprLocalReadAddrB] offset:0 // L -> Reg lro=0 swapByteOffset=0 ti=16 vIdx=0 rIdx=0 oIdx=0 buffer=0 iui=0
_ds_load_b32 v[vgprValuB_X0_I0+1], v[vgprLocalReadAddrB] offset:1152 // L -> Reg lro=0 swapByteOffset=0 ti=16 vIdx=1 rIdx=0 oIdx=0 buffer=0 iui=0
	;; [unrolled: 1-line block ×4, first 2 shown]


/* local read inc a */

s_mov_b32 s0, 0x10                                 // inc
_v_add_co_u32 v[vgprLocalReadAddrA], vcc, s0, v[vgprLocalReadAddrA] // lrA += 16 (LSU*bpe)


/* local read inc b */

s_mov_b32 s0, 0x10                                 // inc
_v_add_co_u32 v[vgprLocalReadAddrB], vcc, s0, v[vgprLocalReadAddrB] // lrB += 16 (LSU*bpe)

s_waitcnt lgkmcnt(0)                               // lgkmcnt=0 vmcnt=-14wait for local read


	;; [unrolled: 1-line block ×3, first 2 shown]
/* tail loop mfma iter 0: numReadsIterCoalescedA=1, numReadsIterCoalescedB=1 */
v_and_b32 v83, 63, v[vgprSerial]                   // v83 = v[vgprSerial] % 64
v_lshrrev_b32 v83, 4, v83                          // v83 = v83 / 16
                                                   // v83 = v83 * 1 (multiplier is 1, do nothing)
v_cmp_ge_i32 s[40:41], v83, s[sgprLoopCounterL]    // check K index >= Size L
v_cndmask_b32 v[vgprValuA_X0_I0+0+0+0+0], v[vgprValuA_X0_I0+0+0+0+0], 0x0, s[40:41] // set 0 if K_idx >= sizeL
v_cndmask_b32 v[vgprValuA_X0_I0+1+0+0+0], v[vgprValuA_X0_I0+1+0+0+0], 0x0, s[40:41] // set 0 if K_idx >= sizeL
v_cndmask_b32 v[vgprValuB_X0_I0+0+0+0+0], v[vgprValuB_X0_I0+0+0+0+0], 0x0, s[40:41] // set 0 if K_idx >= sizeL
v_cndmask_b32 v[vgprValuB_X0_I0+1+0+0+0], v[vgprValuB_X0_I0+1+0+0+0], 0x0, s[40:41] // set 0 if K_idx >= sizeL
	;; [unrolled: 1-line block ×4, first 2 shown]
s_nop 1
v_mfma_f32_16x16x4_f32 v[0+0:3+0], v[vgprValuB_X0_I0+0+0+0], v[vgprValuA_X0_I0+0+0+0], v[0:3]
v_mfma_f32_16x16x4_f32 v[4+0:7+0], v[vgprValuB_X0_I0+0+0+0], v[vgprValuA_X0_I0+1+0+0], v[4:7]
	;; [unrolled: 1-line block ×8, first 2 shown]


/* closeLoop loopL finalLoop=0 tailLoop=1 */
s_sub_i32 s[sgprLoopCounterL], s[sgprLoopCounterL], 0x4 // dec counterL (tailLoop)
s_add_u32 s[sgprOrigLoopCounter], s[sgprOrigLoopCounter], 0x4 // inc counterL
s_cmp_le_i32 s[sgprLoopCounterL], 0x0              // counterL<=0
s_cbranch_scc1 TailLoopEndL_7                      // exit LoopL


/* tail loop unroll iter 1 */


/* local read a */

_ds_load_b32 v[vgprValuA_X1_I0+0], v[vgprLocalReadAddrA] offset:0 // L -> Reg lro=0 swapByteOffset=0 ti=128 vIdx=0 rIdx=0 oIdx=0 buffer=1 iui=0
_ds_load_b32 v[vgprValuA_X1_I0+1], v[vgprLocalReadAddrA] offset:64 // L -> Reg lro=0 swapByteOffset=0 ti=128 vIdx=0 rIdx=0 oIdx=0 buffer=1 iui=0


/* local read b */

_ds_load_b32 v[vgprValuB_X1_I0+0], v[vgprLocalReadAddrB] offset:0 // L -> Reg lro=0 swapByteOffset=0 ti=16 vIdx=0 rIdx=0 oIdx=0 buffer=1 iui=0
_ds_load_b32 v[vgprValuB_X1_I0+1], v[vgprLocalReadAddrB] offset:1152 // L -> Reg lro=0 swapByteOffset=0 ti=16 vIdx=1 rIdx=0 oIdx=0 buffer=1 iui=0
	;; [unrolled: 1-line block ×4, first 2 shown]


/* local read inc a */

s_mov_b32 s0, 0x10                                 // inc
_v_add_co_u32 v[vgprLocalReadAddrA], vcc, s0, v[vgprLocalReadAddrA] // lrA += 16 (LSU*bpe)


/* local read inc b */

s_mov_b32 s0, 0x10                                 // inc
_v_add_co_u32 v[vgprLocalReadAddrB], vcc, s0, v[vgprLocalReadAddrB] // lrB += 16 (LSU*bpe)

s_waitcnt lgkmcnt(0)                               // lgkmcnt=0 vmcnt=-14wait for local read


	;; [unrolled: 1-line block ×3, first 2 shown]
/* tail loop mfma iter 1: numReadsIterCoalescedA=1, numReadsIterCoalescedB=1 */
v_and_b32 v83, 63, v[vgprSerial]                   // v83 = v[vgprSerial] % 64
v_lshrrev_b32 v83, 4, v83                          // v83 = v83 / 16
                                                   // v83 = v83 * 1 (multiplier is 1, do nothing)
v_cmp_ge_i32 s[40:41], v83, s[sgprLoopCounterL]    // check K index >= Size L
v_cndmask_b32 v[vgprValuA_X1_I0+0+0+0+0], v[vgprValuA_X1_I0+0+0+0+0], 0x0, s[40:41] // set 0 if K_idx >= sizeL
v_cndmask_b32 v[vgprValuA_X1_I0+1+0+0+0], v[vgprValuA_X1_I0+1+0+0+0], 0x0, s[40:41] // set 0 if K_idx >= sizeL
v_cndmask_b32 v[vgprValuB_X1_I0+0+0+0+0], v[vgprValuB_X1_I0+0+0+0+0], 0x0, s[40:41] // set 0 if K_idx >= sizeL
v_cndmask_b32 v[vgprValuB_X1_I0+1+0+0+0], v[vgprValuB_X1_I0+1+0+0+0], 0x0, s[40:41] // set 0 if K_idx >= sizeL
	;; [unrolled: 1-line block ×4, first 2 shown]
s_nop 1
v_mfma_f32_16x16x4_f32 v[0+0:3+0], v[vgprValuB_X1_I0+0+0+0], v[vgprValuA_X1_I0+0+0+0], v[0:3]
v_mfma_f32_16x16x4_f32 v[4+0:7+0], v[vgprValuB_X1_I0+0+0+0], v[vgprValuA_X1_I0+1+0+0], v[4:7]
	;; [unrolled: 1-line block ×8, first 2 shown]


/* closeLoop loopL finalLoop=0 tailLoop=1 */
s_sub_i32 s[sgprLoopCounterL], s[sgprLoopCounterL], 0x4 // dec counterL (tailLoop)
s_add_u32 s[sgprOrigLoopCounter], s[sgprOrigLoopCounter], 0x4 // inc counterL
s_cmp_le_i32 s[sgprLoopCounterL], 0x0              // counterL<=0
s_cbranch_scc1 TailLoopEndL_7                      // exit LoopL


/* tail loop unroll iter 2 */


/* local read a */

_ds_load_b32 v[vgprValuA_X2_I0+0], v[vgprLocalReadAddrA] offset:0 // L -> Reg lro=0 swapByteOffset=0 ti=128 vIdx=0 rIdx=0 oIdx=0 buffer=2 iui=0
_ds_load_b32 v[vgprValuA_X2_I0+1], v[vgprLocalReadAddrA] offset:64 // L -> Reg lro=0 swapByteOffset=0 ti=128 vIdx=0 rIdx=0 oIdx=0 buffer=2 iui=0


/* local read b */

_ds_load_b32 v[vgprValuB_X2_I0+0], v[vgprLocalReadAddrB] offset:0 // L -> Reg lro=0 swapByteOffset=0 ti=16 vIdx=0 rIdx=0 oIdx=0 buffer=2 iui=0
_ds_load_b32 v[vgprValuB_X2_I0+1], v[vgprLocalReadAddrB] offset:1152 // L -> Reg lro=0 swapByteOffset=0 ti=16 vIdx=1 rIdx=0 oIdx=0 buffer=2 iui=0
	;; [unrolled: 1-line block ×4, first 2 shown]


/* local read inc a */

s_mov_b32 s0, 0x10                                 // inc
_v_add_co_u32 v[vgprLocalReadAddrA], vcc, s0, v[vgprLocalReadAddrA] // lrA += 16 (LSU*bpe)


/* local read inc b */

s_mov_b32 s0, 0x10                                 // inc
_v_add_co_u32 v[vgprLocalReadAddrB], vcc, s0, v[vgprLocalReadAddrB] // lrB += 16 (LSU*bpe)

s_waitcnt lgkmcnt(0)                               // lgkmcnt=0 vmcnt=-14wait for local read


	;; [unrolled: 1-line block ×3, first 2 shown]
/* tail loop mfma iter 2: numReadsIterCoalescedA=1, numReadsIterCoalescedB=1 */
v_and_b32 v83, 63, v[vgprSerial]                   // v83 = v[vgprSerial] % 64
v_lshrrev_b32 v83, 4, v83                          // v83 = v83 / 16
                                                   // v83 = v83 * 1 (multiplier is 1, do nothing)
v_cmp_ge_i32 s[40:41], v83, s[sgprLoopCounterL]    // check K index >= Size L
v_cndmask_b32 v[vgprValuA_X2_I0+0+0+0+0], v[vgprValuA_X2_I0+0+0+0+0], 0x0, s[40:41] // set 0 if K_idx >= sizeL
v_cndmask_b32 v[vgprValuA_X2_I0+1+0+0+0], v[vgprValuA_X2_I0+1+0+0+0], 0x0, s[40:41] // set 0 if K_idx >= sizeL
v_cndmask_b32 v[vgprValuB_X2_I0+0+0+0+0], v[vgprValuB_X2_I0+0+0+0+0], 0x0, s[40:41] // set 0 if K_idx >= sizeL
v_cndmask_b32 v[vgprValuB_X2_I0+1+0+0+0], v[vgprValuB_X2_I0+1+0+0+0], 0x0, s[40:41] // set 0 if K_idx >= sizeL
v_cndmask_b32 v[vgprValuB_X2_I0+2+0+0+0], v[vgprValuB_X2_I0+2+0+0+0], 0x0, s[40:41] // set 0 if K_idx >= sizeL
v_cndmask_b32 v[vgprValuB_X2_I0+3+0+0+0], v[vgprValuB_X2_I0+3+0+0+0], 0x0, s[40:41] // set 0 if K_idx >= sizeL
s_nop 1
v_mfma_f32_16x16x4_f32 v[0+0:3+0], v[vgprValuB_X2_I0+0+0+0], v[vgprValuA_X2_I0+0+0+0], v[0:3]
v_mfma_f32_16x16x4_f32 v[4+0:7+0], v[vgprValuB_X2_I0+0+0+0], v[vgprValuA_X2_I0+1+0+0], v[4:7]
	;; [unrolled: 1-line block ×8, first 2 shown]


/* closeLoop loopL finalLoop=0 tailLoop=1 */
s_sub_i32 s[sgprLoopCounterL], s[sgprLoopCounterL], 0x4 // dec counterL (tailLoop)
s_add_u32 s[sgprOrigLoopCounter], s[sgprOrigLoopCounter], 0x4 // inc counterL
s_cmp_le_i32 s[sgprLoopCounterL], 0x0              // counterL<=0
s_cbranch_scc1 TailLoopEndL_7                      // exit LoopL


/* tail loop unroll iter 3 */


/* local read a */

_ds_load_b32 v[vgprValuA_X3_I0+0], v[vgprLocalReadAddrA] offset:0 // L -> Reg lro=0 swapByteOffset=0 ti=128 vIdx=0 rIdx=0 oIdx=0 buffer=3 iui=0
_ds_load_b32 v[vgprValuA_X3_I0+1], v[vgprLocalReadAddrA] offset:64 // L -> Reg lro=0 swapByteOffset=0 ti=128 vIdx=0 rIdx=0 oIdx=0 buffer=3 iui=0


/* local read b */

_ds_load_b32 v[vgprValuB_X3_I0+0], v[vgprLocalReadAddrB] offset:0 // L -> Reg lro=0 swapByteOffset=0 ti=16 vIdx=0 rIdx=0 oIdx=0 buffer=3 iui=0
_ds_load_b32 v[vgprValuB_X3_I0+1], v[vgprLocalReadAddrB] offset:1152 // L -> Reg lro=0 swapByteOffset=0 ti=16 vIdx=1 rIdx=0 oIdx=0 buffer=3 iui=0
	;; [unrolled: 1-line block ×4, first 2 shown]


/* local read inc a */

s_mov_b32 s0, 0x10                                 // inc
_v_add_co_u32 v[vgprLocalReadAddrA], vcc, s0, v[vgprLocalReadAddrA] // lrA += 16 (LSU*bpe)


/* local read inc b */

s_mov_b32 s0, 0x10                                 // inc
_v_add_co_u32 v[vgprLocalReadAddrB], vcc, s0, v[vgprLocalReadAddrB] // lrB += 16 (LSU*bpe)

s_waitcnt lgkmcnt(0)                               // lgkmcnt=0 vmcnt=-14wait for local read


	;; [unrolled: 1-line block ×3, first 2 shown]
/* tail loop mfma iter 3: numReadsIterCoalescedA=1, numReadsIterCoalescedB=1 */
v_and_b32 v83, 63, v[vgprSerial]                   // v83 = v[vgprSerial] % 64
v_lshrrev_b32 v83, 4, v83                          // v83 = v83 / 16
                                                   // v83 = v83 * 1 (multiplier is 1, do nothing)
v_cmp_ge_i32 s[40:41], v83, s[sgprLoopCounterL]    // check K index >= Size L
v_cndmask_b32 v[vgprValuA_X3_I0+0+0+0+0], v[vgprValuA_X3_I0+0+0+0+0], 0x0, s[40:41] // set 0 if K_idx >= sizeL
v_cndmask_b32 v[vgprValuA_X3_I0+1+0+0+0], v[vgprValuA_X3_I0+1+0+0+0], 0x0, s[40:41] // set 0 if K_idx >= sizeL
v_cndmask_b32 v[vgprValuB_X3_I0+0+0+0+0], v[vgprValuB_X3_I0+0+0+0+0], 0x0, s[40:41] // set 0 if K_idx >= sizeL
v_cndmask_b32 v[vgprValuB_X3_I0+1+0+0+0], v[vgprValuB_X3_I0+1+0+0+0], 0x0, s[40:41] // set 0 if K_idx >= sizeL
	;; [unrolled: 1-line block ×4, first 2 shown]
s_nop 1
v_mfma_f32_16x16x4_f32 v[0+0:3+0], v[vgprValuB_X3_I0+0+0+0], v[vgprValuA_X3_I0+0+0+0], v[0:3]
v_mfma_f32_16x16x4_f32 v[4+0:7+0], v[vgprValuB_X3_I0+0+0+0], v[vgprValuA_X3_I0+1+0+0], v[4:7]
	;; [unrolled: 1-line block ×8, first 2 shown]


/* closeLoop loopL finalLoop=1 tailLoop=1 */
s_sub_i32 s[sgprLoopCounterL], s[sgprLoopCounterL], 0x4 // dec counterL (tailLoop)
s_add_u32 s[sgprOrigLoopCounter], s[sgprOrigLoopCounter], 0x4 // inc counterL
s_cmp_le_i32 s[sgprLoopCounterL], 0x0              // counterL<=0
s_cbranch_scc0 TailLoopBeginL_6                    // restart LoopL
TailLoopEndL_7:

SkipTailLoopL_8:

Summation_End_18:
s_setprio 0                                        // optimization store
/* endSummation: add vgpr [32...80) to pool */
.set NumFullBlocks, UNDEF
.set WgmRemainder1, UNDEF
.set MagicNumberWgmRemainder1, UNDEF

/* Mapping of Acc register -> C Vgpr register */

/* Multiply MI out register with Alpha -> C Vgpr register */


	;; [unrolled: 1-line block ×3, first 2 shown]
/* not-LocalSplitU: global write indices */

/* computeStoreVgprs */
v_lshrrev_b32 v34, 6, v[vgprSerial]                // v34 = v[vgprSerial] / 64
v_and_b32 v33, 63, v[vgprSerial]                   // v33 = v[vgprSerial] % 64
v_lshrrev_b32 v33, 4, v33                          // v33 = v33 / 16
v_lshlrev_b32 v33, 0x2, v33                        // thread0 * continuous_output
v_lshrrev_b32 v35, 2, v34                          // v35 = v34 / 4
v_mul_lo_u32 v35, 0x10, v35                        // wave coordination offset 1
_v_add_lshl_u32 v33, v35, v33, 0                   // coordination 1 = vwb *(wave_id1 + tid1)
v_and_b32 v35, 3, v34                              // v35 = v34 % 4
v_mul_lo_u32 v35, 0x10, v35                        // wave coordination offset 0
v_and_b32 v32, 15, v[vgprSerial]                   // v32 = v[vgprSerial] % 16
_v_add_lshl_u32 v32, v35, v32, 1                   // coordination 0 = vwa *(wave_id0 + tid0)
s_mul_i32 s0, 128, s[sgprWorkGroup0]               // wgp0 * MT0
_v_add_u32 v32, s0, v32                            // coord 0 = (tid0/MI_m)*4 + waveG0*MIB_m + MT0*SG0
s_mul_i32 s0, 64, s[sgprWorkGroup1]                // wgp1 * MT1
_v_add_u32 v33, s0, v33                            // coord 1 = (tid0%MI_m) + waveG1*MIB_n + MT1*SG1
v_mov_b32 v34, s[sgprAddressD+0]                   // sgpr -> vgpr
v_mov_b32 v35, s[sgprAddressD+1]                   // sgpr -> vgpr
v_mov_b32 v36, s[sgprAddressC+0]                   // sgpr -> vgpr
v_mov_b32 v37, s[sgprAddressC+1]                   // sgpr -> vgpr


/* not-LocalSplitU: global write */

s_cmpk_eq_u32 s[sgprBeta], 0x0                     // Beta == 0
s_cbranch_scc0 GW_Beta_33                          // Branch if Beta is not zero

s_and_b32 s36, 127, s[sgprSizeI]                   // s36 = s[sgprSizeI] % 128
s_add_u32 s37, -0x1, s[sgprNumWorkGroups0]         // 
s_cmp_ge_u32 s[sgprWorkGroup0], s37                // wg0 >= nwg0-1 ?
s_cselect_b32 s36, s36, 0                          // set rMT0
s_cmpk_gt_u32 s36, 0x0                             // rMT0 > 0
s_cbranch_scc1 GW_B0_E1_24                         // jump if edges required
s_and_b32 s36, 63, s[sgprSizeJ]                    // s36 = s[sgprSizeJ] % 64
s_add_u32 s37, -0x1, s[sgprNumWorkGroups1]         // 
s_cmp_ge_u32 s[sgprWorkGroup1], s37                // wg1 >= nwg1-1
s_cselect_b32 s36, s36, 0                          // set rMT1
s_cmpk_gt_u32 s36, 0x0                             // rMT1 > 0
s_cbranch_scc1 GW_B0_E1_24                         // jump if edges required
GW_B0_E0_21:

/* edge=0, allocate 44 sgpr. perBatchTmpS=4 perBatchMaskS=0 perElementMaskS=2 elementsPerBatch=20 */
/* optSingleColVgpr=0 optSharedColVgpr=0 optSGPRUsage=None optSrdIncForRow=0 */
s_sleep 7 // optimization: sync and wait
s_barrier

/******************************************/
/* Global Write Alpha Batch #0 (d1,d0,vc1,vc0) = */
/*    (0,0,0,0:vw2); (0,0,1,0:vw2); (0,0,2,0:vw2); (0,0,3,0:vw2); (1,0,0,0:vw2); (1,0,1,0:vw2); (1,0,2,0:vw2); (1,0,3,0:vw2); (2,0,0,0:vw2); (2,0,1,0:vw2); (2,0,2,0:vw2); (2,0,3,0:vw2); (3,0,0,0:vw2); (3,0,1,0:vw2); (3,0,2,0:vw2); (3,0,3,0:vw2) */
/******************************************/

/* calc coords, apply mask, and issue loads (if necessary) */
/* (d1,vc1,d0,vc0)=(0,0,0,0) */
GLOBAL_OFFSET_D 44, 32, 33, sgprWorkGroup2, 40
v_mov_b32 v40, v44                                 // temp store offset 0
v_mov_b32 v41, v45                                 // temp store offset 1
_v_add_co_u32 v44, vcc, v34, v40                   // addrVgpr = D + index*bytes (lo)
_v_addc_co_u32 v45, vcc, v35, v41, vcc             // addrVgpr = D + index*bytes (hi)
/* (d1,vc1,d0,vc0)=(0,1,0,0) */
_v_add_co_u32 v33, vcc, v33, 1                     // coord1.1: coord1Vgpr += d1*sg1*VW + vc1
GLOBAL_OFFSET_D 48, 32, 33, sgprWorkGroup2, 40
v_mov_b32 v40, v48                                 // temp store offset 0
v_mov_b32 v41, v49                                 // temp store offset 1
_v_add_co_u32 v48, vcc, v34, v40                   // addrVgpr = D + index*bytes (lo)
_v_addc_co_u32 v49, vcc, v35, v41, vcc             // addrVgpr = D + index*bytes (hi)
/* (d1,vc1,d0,vc0)=(0,2,0,0) */
_v_add_co_u32 v33, vcc, v33, 1                     // coord1.1: coord1Vgpr += d1*sg1*VW + vc1
GLOBAL_OFFSET_D 52, 32, 33, sgprWorkGroup2, 40
v_mov_b32 v40, v52                                 // temp store offset 0
v_mov_b32 v41, v53                                 // temp store offset 1
_v_add_co_u32 v52, vcc, v34, v40                   // addrVgpr = D + index*bytes (lo)
_v_addc_co_u32 v53, vcc, v35, v41, vcc             // addrVgpr = D + index*bytes (hi)
/* (d1,vc1,d0,vc0)=(0,3,0,0) */
_v_add_co_u32 v33, vcc, v33, 1                     // coord1.1: coord1Vgpr += d1*sg1*VW + vc1
GLOBAL_OFFSET_D 56, 32, 33, sgprWorkGroup2, 40
v_mov_b32 v40, v56                                 // temp store offset 0
v_mov_b32 v41, v57                                 // temp store offset 1
_v_add_co_u32 v56, vcc, v34, v40                   // addrVgpr = D + index*bytes (lo)
_v_addc_co_u32 v57, vcc, v35, v41, vcc             // addrVgpr = D + index*bytes (hi)
/* (d1,vc1,d0,vc0)=(1,0,0,0) */
_v_add_co_u32 v33, vcc, v33, 13                    // coord1.1: coord1Vgpr += d1*sg1*VW + vc1
GLOBAL_OFFSET_D 60, 32, 33, sgprWorkGroup2, 40
v_mov_b32 v40, v60                                 // temp store offset 0
v_mov_b32 v41, v61                                 // temp store offset 1
_v_add_co_u32 v60, vcc, v34, v40                   // addrVgpr = D + index*bytes (lo)
_v_addc_co_u32 v61, vcc, v35, v41, vcc             // addrVgpr = D + index*bytes (hi)
/* (d1,vc1,d0,vc0)=(1,1,0,0) */
_v_add_co_u32 v33, vcc, v33, 1                     // coord1.1: coord1Vgpr += d1*sg1*VW + vc1
GLOBAL_OFFSET_D 64, 32, 33, sgprWorkGroup2, 40
v_mov_b32 v40, v64                                 // temp store offset 0
v_mov_b32 v41, v65                                 // temp store offset 1
_v_add_co_u32 v64, vcc, v34, v40                   // addrVgpr = D + index*bytes (lo)
_v_addc_co_u32 v65, vcc, v35, v41, vcc             // addrVgpr = D + index*bytes (hi)
/* (d1,vc1,d0,vc0)=(1,2,0,0) */
_v_add_co_u32 v33, vcc, v33, 1                     // coord1.1: coord1Vgpr += d1*sg1*VW + vc1
GLOBAL_OFFSET_D 68, 32, 33, sgprWorkGroup2, 40
v_mov_b32 v40, v68                                 // temp store offset 0
v_mov_b32 v41, v69                                 // temp store offset 1
_v_add_co_u32 v68, vcc, v34, v40                   // addrVgpr = D + index*bytes (lo)
_v_addc_co_u32 v69, vcc, v35, v41, vcc             // addrVgpr = D + index*bytes (hi)
/* (d1,vc1,d0,vc0)=(1,3,0,0) */
_v_add_co_u32 v33, vcc, v33, 1                     // coord1.1: coord1Vgpr += d1*sg1*VW + vc1
GLOBAL_OFFSET_D 72, 32, 33, sgprWorkGroup2, 40
v_mov_b32 v40, v72                                 // temp store offset 0
v_mov_b32 v41, v73                                 // temp store offset 1
_v_add_co_u32 v72, vcc, v34, v40                   // addrVgpr = D + index*bytes (lo)
_v_addc_co_u32 v73, vcc, v35, v41, vcc             // addrVgpr = D + index*bytes (hi)
/* (d1,vc1,d0,vc0)=(2,0,0,0) */
_v_add_co_u32 v33, vcc, v33, 13                    // coord1.1: coord1Vgpr += d1*sg1*VW + vc1
	;; [unrolled: 28-line block ×3, first 2 shown]
GLOBAL_OFFSET_D 96, 32, 33, sgprWorkGroup2, 40
v_mov_b32 v40, v96                                 // temp store offset 0
v_mov_b32 v41, v97                                 // temp store offset 1
_v_add_co_u32 v96, vcc, v34, v40                   // addrVgpr = D + index*bytes (lo)
_v_addc_co_u32 v97, vcc, v35, v41, vcc             // addrVgpr = D + index*bytes (hi)
/* (d1,vc1,d0,vc0)=(3,1,0,0) */
_v_add_co_u32 v33, vcc, v33, 1                     // coord1.1: coord1Vgpr += d1*sg1*VW + vc1
GLOBAL_OFFSET_D 100, 32, 33, sgprWorkGroup2, 40
v_mov_b32 v40, v100                                // temp store offset 0
v_mov_b32 v41, v101                                // temp store offset 1
_v_add_co_u32 v100, vcc, v34, v40                  // addrVgpr = D + index*bytes (lo)
_v_addc_co_u32 v101, vcc, v35, v41, vcc            // addrVgpr = D + index*bytes (hi)
/* (d1,vc1,d0,vc0)=(3,2,0,0) */
_v_add_co_u32 v33, vcc, v33, 1                     // coord1.1: coord1Vgpr += d1*sg1*VW + vc1
GLOBAL_OFFSET_D 104, 32, 33, sgprWorkGroup2, 40
v_mov_b32 v40, v104                                // temp store offset 0
v_mov_b32 v41, v105                                // temp store offset 1
_v_add_co_u32 v104, vcc, v34, v40                  // addrVgpr = D + index*bytes (lo)
_v_addc_co_u32 v105, vcc, v35, v41, vcc            // addrVgpr = D + index*bytes (hi)
	;; [unrolled: 7-line block ×3, first 2 shown]

/* rC *= alpha batchElements=[(0, 0, 0, 0), (0, 0, 1, 0), (0, 0, 2, 0), (0, 0, 3, 0), (1, 0, 0, 0), (1, 0, 1, 0), (1, 0, 2, 0), (1, 0, 3, 0), (2, 0, 0, 0), (2, 0, 1, 0), (2, 0, 2, 0), (2, 0, 3, 0), (3, 0, 0, 0), (3, 0, 1, 0), (3, 0, 2, 0), (3, 0, 3, 0)] */
v_mul_f32 v[vgprValuC+46], s[sgprAlpha], v[vgprValuC+0] // Multiply MI out reg with alpha
v_mul_f32 v[vgprValuC+47], s[sgprAlpha], v[vgprValuC+4] // Multiply MI out reg with alpha
	;; [unrolled: 1-line block ×32, first 2 shown]

/* apply mask, calc new C and issue writes */
_global_store_b64 v[44:45], v[46:47], off,  sc0 sc1 // store D
_global_store_b64 v[48:49], v[50:51], off,  sc0 sc1 // store D
	;; [unrolled: 1-line block ×16, first 2 shown]
s_nop 0                                            // 1 wait state required when next inst writes vgprs held by previous dwordx4 store inst
s_branch label_GW_End_32                           // jump to end
GW_B0_E1_24:

/* edge=1, allocate 56 sgpr. perBatchTmpS=4 perBatchMaskS=0 perElementMaskS=2 elementsPerBatch=26 */
/* optSingleColVgpr=0 optSharedColVgpr=0 optSGPRUsage=None optSrdIncForRow=0 */
s_sleep 7 // optimization: sync and wait
s_barrier

/******************************************/
/* Global Write Alpha Edge Batch #0 (d1,d0,vc1,vc0) = */
/*    (0,0,0,0:vw1); (0,0,0,1:vw1); (0,0,1,0:vw1); (0,0,1,1:vw1); (0,0,2,0:vw1); (0,0,2,1:vw1); (0,0,3,0:vw1); (0,0,3,1:vw1); (1,0,0,0:vw1); (1,0,0,1:vw1); (1,0,1,0:vw1); (1,0,1,1:vw1); (1,0,2,0:vw1); (1,0,2,1:vw1); (1,0,3,0:vw1); (1,0,3,1:vw1); (2,0,0,0:vw1); (2,0,0,1:vw1); (2,0,1,0:vw1); (2,0,1,1:vw1); (2,0,2,0:vw1); (2,0,2,1:vw1); (2,0,3,0:vw1); (2,0,3,1:vw1); (3,0,0,0:vw1); (3,0,0,1:vw1) */
/******************************************/

/* calc coords, apply mask, and issue loads (if necessary) */
/* (d1,vc1,d0,vc0)=(0,0,0,0) */
GLOBAL_OFFSET_D 44, 32, 33, sgprWorkGroup2, 40
v_mov_b32 v40, v44                                 // temp store offset 0
v_mov_b32 v41, v45                                 // temp store offset 1
v_cmp_lt_u32 s[36:37], v32, s[sgprSizesFree+0]     // coord0 < size0
v_cmp_lt_u32 s[38:39], v33, s[sgprSizesFree+1]     // coord1 < size1
s_and_b64 s[40:41], s[36:37], s[38:39]             // in0 && in1
_v_add_co_u32 v44, vcc, v34, v40                   // addrVgpr = D + index*bytes (lo)
_v_addc_co_u32 v45, vcc, v35, v41, vcc             // addrVgpr = D + index*bytes (hi)
/* (d1,vc1,d0,vc0)=(0,0,0,1) */
_v_add_co_u32 v38, vcc, v32, 1                     // coord0.1: coord0 += d0*sg0*VW + vc0
GLOBAL_OFFSET_D 46, 38, 33, sgprWorkGroup2, 40
v_mov_b32 v40, v46                                 // temp store offset 0
v_mov_b32 v41, v47                                 // temp store offset 1
v_cmp_lt_u32 s[36:37], v38, s[sgprSizesFree+0]     // coord0 < size0
v_cmp_lt_u32 s[38:39], v33, s[sgprSizesFree+1]     // coord1 < size1
s_and_b64 s[42:43], s[36:37], s[38:39]             // in0 && in1
_v_add_co_u32 v46, vcc, v34, v40                   // addrVgpr = D + index*bytes (lo)
_v_addc_co_u32 v47, vcc, v35, v41, vcc             // addrVgpr = D + index*bytes (hi)
/* (d1,vc1,d0,vc0)=(0,1,0,0) */
_v_add_co_u32 v33, vcc, v33, 1                     // coord1.1: coord1Vgpr += d1*sg1*VW + vc1
GLOBAL_OFFSET_D 50, 32, 33, sgprWorkGroup2, 40
v_mov_b32 v40, v50                                 // temp store offset 0
v_mov_b32 v41, v51                                 // temp store offset 1
v_cmp_lt_u32 s[36:37], v32, s[sgprSizesFree+0]     // coord0 < size0
v_cmp_lt_u32 s[38:39], v33, s[sgprSizesFree+1]     // coord1 < size1
s_and_b64 s[44:45], s[36:37], s[38:39]             // in0 && in1
_v_add_co_u32 v50, vcc, v34, v40                   // addrVgpr = D + index*bytes (lo)
_v_addc_co_u32 v51, vcc, v35, v41, vcc             // addrVgpr = D + index*bytes (hi)
/* (d1,vc1,d0,vc0)=(0,1,0,1) */
_v_add_co_u32 v38, vcc, v32, 1                     // coord0.1: coord0 += d0*sg0*VW + vc0
GLOBAL_OFFSET_D 52, 38, 33, sgprWorkGroup2, 40
v_mov_b32 v40, v52                                 // temp store offset 0
v_mov_b32 v41, v53                                 // temp store offset 1
v_cmp_lt_u32 s[36:37], v38, s[sgprSizesFree+0]     // coord0 < size0
v_cmp_lt_u32 s[38:39], v33, s[sgprSizesFree+1]     // coord1 < size1
s_and_b64 s[46:47], s[36:37], s[38:39]             // in0 && in1
_v_add_co_u32 v52, vcc, v34, v40                   // addrVgpr = D + index*bytes (lo)
_v_addc_co_u32 v53, vcc, v35, v41, vcc             // addrVgpr = D + index*bytes (hi)
/* (d1,vc1,d0,vc0)=(0,2,0,0) */
_v_add_co_u32 v33, vcc, v33, 1                     // coord1.1: coord1Vgpr += d1*sg1*VW + vc1
	;; [unrolled: 20-line block ×3, first 2 shown]
GLOBAL_OFFSET_D 62, 32, 33, sgprWorkGroup2, 40
v_mov_b32 v40, v62                                 // temp store offset 0
v_mov_b32 v41, v63                                 // temp store offset 1
v_cmp_lt_u32 s[36:37], v32, s[sgprSizesFree+0]     // coord0 < size0
v_cmp_lt_u32 s[38:39], v33, s[sgprSizesFree+1]     // coord1 < size1
s_and_b64 s[52:53], s[36:37], s[38:39]             // in0 && in1
_v_add_co_u32 v62, vcc, v34, v40                   // addrVgpr = D + index*bytes (lo)
_v_addc_co_u32 v63, vcc, v35, v41, vcc             // addrVgpr = D + index*bytes (hi)
/* (d1,vc1,d0,vc0)=(0,3,0,1) */
_v_add_co_u32 v38, vcc, v32, 1                     // coord0.1: coord0 += d0*sg0*VW + vc0
GLOBAL_OFFSET_D 64, 38, 33, sgprWorkGroup2, 40
v_mov_b32 v40, v64                                 // temp store offset 0
v_mov_b32 v41, v65                                 // temp store offset 1
v_cmp_lt_u32 s[36:37], v38, s[sgprSizesFree+0]     // coord0 < size0
v_cmp_lt_u32 s[38:39], v33, s[sgprSizesFree+1]     // coord1 < size1
s_and_b64 s[54:55], s[36:37], s[38:39]             // in0 && in1
_v_add_co_u32 v64, vcc, v34, v40                   // addrVgpr = D + index*bytes (lo)
_v_addc_co_u32 v65, vcc, v35, v41, vcc             // addrVgpr = D + index*bytes (hi)
/* (d1,vc1,d0,vc0)=(1,0,0,0) */
_v_add_co_u32 v33, vcc, v33, 13                    // coord1.1: coord1Vgpr += d1*sg1*VW + vc1
GLOBAL_OFFSET_D 68, 32, 33, sgprWorkGroup2, 40
v_mov_b32 v40, v68                                 // temp store offset 0
v_mov_b32 v41, v69                                 // temp store offset 1
v_cmp_lt_u32 s[36:37], v32, s[sgprSizesFree+0]     // coord0 < size0
v_cmp_lt_u32 s[38:39], v33, s[sgprSizesFree+1]     // coord1 < size1
s_and_b64 s[56:57], s[36:37], s[38:39]             // in0 && in1
_v_add_co_u32 v68, vcc, v34, v40                   // addrVgpr = D + index*bytes (lo)
_v_addc_co_u32 v69, vcc, v35, v41, vcc             // addrVgpr = D + index*bytes (hi)
/* (d1,vc1,d0,vc0)=(1,0,0,1) */
_v_add_co_u32 v38, vcc, v32, 1                     // coord0.1: coord0 += d0*sg0*VW + vc0
GLOBAL_OFFSET_D 70, 38, 33, sgprWorkGroup2, 40
v_mov_b32 v40, v70                                 // temp store offset 0
v_mov_b32 v41, v71                                 // temp store offset 1
v_cmp_lt_u32 s[36:37], v38, s[sgprSizesFree+0]     // coord0 < size0
v_cmp_lt_u32 s[38:39], v33, s[sgprSizesFree+1]     // coord1 < size1
s_and_b64 s[58:59], s[36:37], s[38:39]             // in0 && in1
_v_add_co_u32 v70, vcc, v34, v40                   // addrVgpr = D + index*bytes (lo)
_v_addc_co_u32 v71, vcc, v35, v41, vcc             // addrVgpr = D + index*bytes (hi)
/* (d1,vc1,d0,vc0)=(1,1,0,0) */
_v_add_co_u32 v33, vcc, v33, 1                     // coord1.1: coord1Vgpr += d1*sg1*VW + vc1
GLOBAL_OFFSET_D 74, 32, 33, sgprWorkGroup2, 40
v_mov_b32 v40, v74                                 // temp store offset 0
v_mov_b32 v41, v75                                 // temp store offset 1
v_cmp_lt_u32 s[36:37], v32, s[sgprSizesFree+0]     // coord0 < size0
v_cmp_lt_u32 s[38:39], v33, s[sgprSizesFree+1]     // coord1 < size1
s_and_b64 s[60:61], s[36:37], s[38:39]             // in0 && in1
_v_add_co_u32 v74, vcc, v34, v40                   // addrVgpr = D + index*bytes (lo)
_v_addc_co_u32 v75, vcc, v35, v41, vcc             // addrVgpr = D + index*bytes (hi)
/* (d1,vc1,d0,vc0)=(1,1,0,1) */
_v_add_co_u32 v38, vcc, v32, 1                     // coord0.1: coord0 += d0*sg0*VW + vc0
GLOBAL_OFFSET_D 76, 38, 33, sgprWorkGroup2, 40
v_mov_b32 v40, v76                                 // temp store offset 0
v_mov_b32 v41, v77                                 // temp store offset 1
v_cmp_lt_u32 s[36:37], v38, s[sgprSizesFree+0]     // coord0 < size0
v_cmp_lt_u32 s[38:39], v33, s[sgprSizesFree+1]     // coord1 < size1
s_and_b64 s[62:63], s[36:37], s[38:39]             // in0 && in1
_v_add_co_u32 v76, vcc, v34, v40                   // addrVgpr = D + index*bytes (lo)
_v_addc_co_u32 v77, vcc, v35, v41, vcc             // addrVgpr = D + index*bytes (hi)
/* (d1,vc1,d0,vc0)=(1,2,0,0) */
_v_add_co_u32 v33, vcc, v33, 1                     // coord1.1: coord1Vgpr += d1*sg1*VW + vc1
	;; [unrolled: 20-line block ×3, first 2 shown]
GLOBAL_OFFSET_D 88, 32, 33, sgprWorkGroup2, 40
v_mov_b32 v40, v88                                 // temp store offset 0
v_mov_b32 v41, v89                                 // temp store offset 1
v_cmp_lt_u32 s[36:37], v32, s[sgprSizesFree+0]     // coord0 < size0
v_cmp_lt_u32 s[38:39], v33, s[sgprSizesFree+1]     // coord1 < size1
s_and_b64 s[68:69], s[36:37], s[38:39]             // in0 && in1
_v_add_co_u32 v88, vcc, v34, v40                   // addrVgpr = D + index*bytes (lo)
_v_addc_co_u32 v89, vcc, v35, v41, vcc             // addrVgpr = D + index*bytes (hi)
/* (d1,vc1,d0,vc0)=(1,3,0,1) */
_v_add_co_u32 v38, vcc, v32, 1                     // coord0.1: coord0 += d0*sg0*VW + vc0
GLOBAL_OFFSET_D 92, 38, 33, sgprWorkGroup2, 40
v_mov_b32 v40, v92                                 // temp store offset 0
v_mov_b32 v41, v93                                 // temp store offset 1
v_cmp_lt_u32 s[36:37], v38, s[sgprSizesFree+0]     // coord0 < size0
v_cmp_lt_u32 s[38:39], v33, s[sgprSizesFree+1]     // coord1 < size1
s_and_b64 s[70:71], s[36:37], s[38:39]             // in0 && in1
_v_add_co_u32 v92, vcc, v34, v40                   // addrVgpr = D + index*bytes (lo)
_v_addc_co_u32 v93, vcc, v35, v41, vcc             // addrVgpr = D + index*bytes (hi)
/* (d1,vc1,d0,vc0)=(2,0,0,0) */
_v_add_co_u32 v33, vcc, v33, 13                    // coord1.1: coord1Vgpr += d1*sg1*VW + vc1
GLOBAL_OFFSET_D 94, 32, 33, sgprWorkGroup2, 40
v_mov_b32 v40, v94                                 // temp store offset 0
v_mov_b32 v41, v95                                 // temp store offset 1
v_cmp_lt_u32 s[36:37], v32, s[sgprSizesFree+0]     // coord0 < size0
v_cmp_lt_u32 s[38:39], v33, s[sgprSizesFree+1]     // coord1 < size1
s_and_b64 s[72:73], s[36:37], s[38:39]             // in0 && in1
_v_add_co_u32 v94, vcc, v34, v40                   // addrVgpr = D + index*bytes (lo)
_v_addc_co_u32 v95, vcc, v35, v41, vcc             // addrVgpr = D + index*bytes (hi)
/* (d1,vc1,d0,vc0)=(2,0,0,1) */
_v_add_co_u32 v38, vcc, v32, 1                     // coord0.1: coord0 += d0*sg0*VW + vc0
GLOBAL_OFFSET_D 98, 38, 33, sgprWorkGroup2, 40
v_mov_b32 v40, v98                                 // temp store offset 0
v_mov_b32 v41, v99                                 // temp store offset 1
v_cmp_lt_u32 s[36:37], v38, s[sgprSizesFree+0]     // coord0 < size0
v_cmp_lt_u32 s[38:39], v33, s[sgprSizesFree+1]     // coord1 < size1
s_and_b64 s[74:75], s[36:37], s[38:39]             // in0 && in1
_v_add_co_u32 v98, vcc, v34, v40                   // addrVgpr = D + index*bytes (lo)
_v_addc_co_u32 v99, vcc, v35, v41, vcc             // addrVgpr = D + index*bytes (hi)
/* (d1,vc1,d0,vc0)=(2,1,0,0) */
_v_add_co_u32 v33, vcc, v33, 1                     // coord1.1: coord1Vgpr += d1*sg1*VW + vc1
GLOBAL_OFFSET_D 100, 32, 33, sgprWorkGroup2, 40
v_mov_b32 v40, v100                                // temp store offset 0
v_mov_b32 v41, v101                                // temp store offset 1
v_cmp_lt_u32 s[36:37], v32, s[sgprSizesFree+0]     // coord0 < size0
v_cmp_lt_u32 s[38:39], v33, s[sgprSizesFree+1]     // coord1 < size1
s_and_b64 s[76:77], s[36:37], s[38:39]             // in0 && in1
_v_add_co_u32 v100, vcc, v34, v40                  // addrVgpr = D + index*bytes (lo)
_v_addc_co_u32 v101, vcc, v35, v41, vcc            // addrVgpr = D + index*bytes (hi)
/* (d1,vc1,d0,vc0)=(2,1,0,1) */
_v_add_co_u32 v38, vcc, v32, 1                     // coord0.1: coord0 += d0*sg0*VW + vc0
GLOBAL_OFFSET_D 104, 38, 33, sgprWorkGroup2, 40
v_mov_b32 v40, v104                                // temp store offset 0
v_mov_b32 v41, v105                                // temp store offset 1
v_cmp_lt_u32 s[36:37], v38, s[sgprSizesFree+0]     // coord0 < size0
v_cmp_lt_u32 s[38:39], v33, s[sgprSizesFree+1]     // coord1 < size1
s_and_b64 s[78:79], s[36:37], s[38:39]             // in0 && in1
_v_add_co_u32 v104, vcc, v34, v40                  // addrVgpr = D + index*bytes (lo)
_v_addc_co_u32 v105, vcc, v35, v41, vcc            // addrVgpr = D + index*bytes (hi)
/* (d1,vc1,d0,vc0)=(2,2,0,0) */
_v_add_co_u32 v33, vcc, v33, 1                     // coord1.1: coord1Vgpr += d1*sg1*VW + vc1
GLOBAL_OFFSET_D 106, 32, 33, sgprWorkGroup2, 40
v_mov_b32 v40, v106                                // temp store offset 0
v_mov_b32 v41, v107                                // temp store offset 1
v_cmp_lt_u32 s[36:37], v32, s[sgprSizesFree+0]     // coord0 < size0
v_cmp_lt_u32 s[38:39], v33, s[sgprSizesFree+1]     // coord1 < size1
s_and_b64 s[80:81], s[36:37], s[38:39]             // in0 && in1
_v_add_co_u32 v106, vcc, v34, v40                  // addrVgpr = D + index*bytes (lo)
_v_addc_co_u32 v107, vcc, v35, v41, vcc            // addrVgpr = D + index*bytes (hi)
/* (d1,vc1,d0,vc0)=(2,2,0,1) */
_v_add_co_u32 v38, vcc, v32, 1                     // coord0.1: coord0 += d0*sg0*VW + vc0
GLOBAL_OFFSET_D 110, 38, 33, sgprWorkGroup2, 40
v_mov_b32 v40, v110                                // temp store offset 0
v_mov_b32 v41, v111                                // temp store offset 1
v_cmp_lt_u32 s[36:37], v38, s[sgprSizesFree+0]     // coord0 < size0
v_cmp_lt_u32 s[38:39], v33, s[sgprSizesFree+1]     // coord1 < size1
s_and_b64 s[82:83], s[36:37], s[38:39]             // in0 && in1
_v_add_co_u32 v110, vcc, v34, v40                  // addrVgpr = D + index*bytes (lo)
_v_addc_co_u32 v111, vcc, v35, v41, vcc            // addrVgpr = D + index*bytes (hi)
	;; [unrolled: 20-line block ×3, first 2 shown]
/* (d1,vc1,d0,vc0)=(3,0,0,0) */
_v_add_co_u32 v33, vcc, v33, 13                    // coord1.1: coord1Vgpr += d1*sg1*VW + vc1
GLOBAL_OFFSET_D 118, 32, 33, sgprWorkGroup2, 40
v_mov_b32 v40, v118                                // temp store offset 0
v_mov_b32 v41, v119                                // temp store offset 1
v_cmp_lt_u32 s[36:37], v32, s[sgprSizesFree+0]     // coord0 < size0
v_cmp_lt_u32 s[38:39], v33, s[sgprSizesFree+1]     // coord1 < size1
s_and_b64 s[88:89], s[36:37], s[38:39]             // in0 && in1
_v_add_co_u32 v118, vcc, v34, v40                  // addrVgpr = D + index*bytes (lo)
_v_addc_co_u32 v119, vcc, v35, v41, vcc            // addrVgpr = D + index*bytes (hi)
/* (d1,vc1,d0,vc0)=(3,0,0,1) */
_v_add_co_u32 v38, vcc, v32, 1                     // coord0.1: coord0 += d0*sg0*VW + vc0
GLOBAL_OFFSET_D 122, 38, 33, sgprWorkGroup2, 40
v_mov_b32 v40, v122                                // temp store offset 0
v_mov_b32 v41, v123                                // temp store offset 1
v_cmp_lt_u32 s[36:37], v38, s[sgprSizesFree+0]     // coord0 < size0
v_cmp_lt_u32 s[38:39], v33, s[sgprSizesFree+1]     // coord1 < size1
s_and_b64 s[90:91], s[36:37], s[38:39]             // in0 && in1
_v_add_co_u32 v122, vcc, v34, v40                  // addrVgpr = D + index*bytes (lo)
_v_addc_co_u32 v123, vcc, v35, v41, vcc            // addrVgpr = D + index*bytes (hi)

/* rC *= alpha batchElements=[(0, 0, 0, 0), (0, 0, 0, 1), (0, 0, 1, 0), (0, 0, 1, 1), (0, 0, 2, 0), (0, 0, 2, 1), (0, 0, 3, 0), (0, 0, 3, 1), (1, 0, 0, 0), (1, 0, 0, 1), (1, 0, 1, 0), (1, 0, 1, 1), (1, 0, 2, 0), (1, 0, 2, 1), (1, 0, 3, 0), (1, 0, 3, 1), (2, 0, 0, 0), (2, 0, 0, 1), (2, 0, 1, 0), (2, 0, 1, 1), (2, 0, 2, 0), (2, 0, 2, 1), (2, 0, 3, 0), (2, 0, 3, 1), (3, 0, 0, 0), (3, 0, 0, 1)] */
v_mul_f32 v[vgprValuC+43], s[sgprAlpha], v[vgprValuC+0] // Multiply MI out reg with alpha
v_mul_f32 v[vgprValuC+48], s[sgprAlpha], v[vgprValuC+4] // Multiply MI out reg with alpha
	;; [unrolled: 1-line block ×26, first 2 shown]

/* apply mask, calc new C and issue writes */
s_mov_b64 exec, s[40:41]                           // sgprs -> exec
_global_store_b32 v[44:45], v43, off,  sc0 sc1     // store D
s_mov_b64 exec, s[42:43]                           // sgprs -> exec
_global_store_b32 v[46:47], v48, off,  sc0 sc1     // store D
	;; [unrolled: 2-line block ×18, first 2 shown]
s_mov_b64 exec, s[76:77]                           // sgprs -> exec
_global_store_b32 v[100:101], v102, off,  sc0 sc1  // store D
s_mov_b64 exec, s[78:79]                           // sgprs -> exec
_global_store_b32 v[104:105], v103, off,  sc0 sc1  // store D
s_mov_b64 exec, s[80:81]                           // sgprs -> exec
_global_store_b32 v[106:107], v108, off,  sc0 sc1  // store D
s_mov_b64 exec, s[82:83]                           // sgprs -> exec
_global_store_b32 v[110:111], v109, off,  sc0 sc1  // store D
s_mov_b64 exec, s[84:85]                           // sgprs -> exec
_global_store_b32 v[112:113], v114, off,  sc0 sc1  // store D
s_mov_b64 exec, s[86:87]                           // sgprs -> exec
_global_store_b32 v[116:117], v115, off,  sc0 sc1  // store D
s_mov_b64 exec, s[88:89]                           // sgprs -> exec
_global_store_b32 v[118:119], v120, off,  sc0 sc1  // store D
s_mov_b64 exec, s[90:91]                           // sgprs -> exec
_global_store_b32 v[122:123], v121, off,  sc0 sc1  // store D
s_mov_b64 exec, -1                                 // full mask -> exec
s_nop 0                                            // 1 wait state required when next inst writes vgprs held by previous dwordx4 store inst
/* optSingleColVgpr=0 optSharedColVgpr=0 optSGPRUsage=None optSrdIncForRow=0 */
s_sleep 7 // optimization: sync and wait
s_barrier

/******************************************/
/* Global Write Alpha Edge Batch #1 (d1,d0,vc1,vc0) = */
/*    (3,0,1,0:vw1); (3,0,1,1:vw1); (3,0,2,0:vw1); (3,0,2,1:vw1); (3,0,3,0:vw1); (3,0,3,1:vw1) */
/******************************************/

/* calc coords, apply mask, and issue loads (if necessary) */
/* (d1,vc1,d0,vc0)=(3,1,0,0) */
_v_add_co_u32 v33, vcc, v33, 1                     // coord1.1: coord1Vgpr += d1*sg1*VW + vc1
GLOBAL_OFFSET_D 44, 32, 33, sgprWorkGroup2, 40
v_mov_b32 v40, v44                                 // temp store offset 0
v_mov_b32 v41, v45                                 // temp store offset 1
v_cmp_lt_u32 s[36:37], v32, s[sgprSizesFree+0]     // coord0 < size0
v_cmp_lt_u32 s[38:39], v33, s[sgprSizesFree+1]     // coord1 < size1
s_and_b64 s[40:41], s[36:37], s[38:39]             // in0 && in1
_v_add_co_u32 v44, vcc, v34, v40                   // addrVgpr = D + index*bytes (lo)
_v_addc_co_u32 v45, vcc, v35, v41, vcc             // addrVgpr = D + index*bytes (hi)
/* (d1,vc1,d0,vc0)=(3,1,0,1) */
_v_add_co_u32 v38, vcc, v32, 1                     // coord0.1: coord0 += d0*sg0*VW + vc0
GLOBAL_OFFSET_D 46, 38, 33, sgprWorkGroup2, 40
v_mov_b32 v40, v46                                 // temp store offset 0
v_mov_b32 v41, v47                                 // temp store offset 1
v_cmp_lt_u32 s[36:37], v38, s[sgprSizesFree+0]     // coord0 < size0
v_cmp_lt_u32 s[38:39], v33, s[sgprSizesFree+1]     // coord1 < size1
s_and_b64 s[42:43], s[36:37], s[38:39]             // in0 && in1
_v_add_co_u32 v46, vcc, v34, v40                   // addrVgpr = D + index*bytes (lo)
_v_addc_co_u32 v47, vcc, v35, v41, vcc             // addrVgpr = D + index*bytes (hi)
/* (d1,vc1,d0,vc0)=(3,2,0,0) */
_v_add_co_u32 v33, vcc, v33, 1                     // coord1.1: coord1Vgpr += d1*sg1*VW + vc1
GLOBAL_OFFSET_D 50, 32, 33, sgprWorkGroup2, 40
v_mov_b32 v40, v50                                 // temp store offset 0
v_mov_b32 v41, v51                                 // temp store offset 1
v_cmp_lt_u32 s[36:37], v32, s[sgprSizesFree+0]     // coord0 < size0
v_cmp_lt_u32 s[38:39], v33, s[sgprSizesFree+1]     // coord1 < size1
s_and_b64 s[44:45], s[36:37], s[38:39]             // in0 && in1
_v_add_co_u32 v50, vcc, v34, v40                   // addrVgpr = D + index*bytes (lo)
_v_addc_co_u32 v51, vcc, v35, v41, vcc             // addrVgpr = D + index*bytes (hi)
/* (d1,vc1,d0,vc0)=(3,2,0,1) */
_v_add_co_u32 v38, vcc, v32, 1                     // coord0.1: coord0 += d0*sg0*VW + vc0
GLOBAL_OFFSET_D 52, 38, 33, sgprWorkGroup2, 40
v_mov_b32 v40, v52                                 // temp store offset 0
v_mov_b32 v41, v53                                 // temp store offset 1
v_cmp_lt_u32 s[36:37], v38, s[sgprSizesFree+0]     // coord0 < size0
v_cmp_lt_u32 s[38:39], v33, s[sgprSizesFree+1]     // coord1 < size1
s_and_b64 s[46:47], s[36:37], s[38:39]             // in0 && in1
_v_add_co_u32 v52, vcc, v34, v40                   // addrVgpr = D + index*bytes (lo)
_v_addc_co_u32 v53, vcc, v35, v41, vcc             // addrVgpr = D + index*bytes (hi)
	;; [unrolled: 20-line block ×3, first 2 shown]

/* rC *= alpha batchElements=[(3, 0, 1, 0), (3, 0, 1, 1), (3, 0, 2, 0), (3, 0, 2, 1), (3, 0, 3, 0), (3, 0, 3, 1)] */
v_mul_f32 v[vgprValuC+43], s[sgprAlpha], v[vgprValuC+25] // Multiply MI out reg with alpha
v_mul_f32 v[vgprValuC+48], s[sgprAlpha], v[vgprValuC+29] // Multiply MI out reg with alpha
	;; [unrolled: 1-line block ×6, first 2 shown]

/* apply mask, calc new C and issue writes */
s_mov_b64 exec, s[40:41]                           // sgprs -> exec
_global_store_b32 v[44:45], v43, off,  sc0 sc1     // store D
s_mov_b64 exec, s[42:43]                           // sgprs -> exec
_global_store_b32 v[46:47], v48, off,  sc0 sc1     // store D
	;; [unrolled: 2-line block ×6, first 2 shown]
s_mov_b64 exec, -1                                 // full mask -> exec
s_nop 0                                            // 1 wait state required when next inst writes vgprs held by previous dwordx4 store inst
s_branch label_GW_End_32                           // jump to end
GW_Beta_33:
s_and_b32 s36, 127, s[sgprSizeI]                   // s36 = s[sgprSizeI] % 128
s_add_u32 s37, -0x1, s[sgprNumWorkGroups0]         // 
s_cmp_ge_u32 s[sgprWorkGroup0], s37                // wg0 >= nwg0-1 ?
s_cselect_b32 s36, s36, 0                          // set rMT0
s_cmpk_gt_u32 s36, 0x0                             // rMT0 > 0
s_cbranch_scc1 GW_B1_E1_31                         // jump if edges required
s_and_b32 s36, 63, s[sgprSizeJ]                    // s36 = s[sgprSizeJ] % 64
s_add_u32 s37, -0x1, s[sgprNumWorkGroups1]         // 
s_cmp_ge_u32 s[sgprWorkGroup1], s37                // wg1 >= nwg1-1
s_cselect_b32 s36, s36, 0                          // set rMT1
s_cmpk_gt_u32 s36, 0x0                             // rMT1 > 0
s_cbranch_scc1 GW_B1_E1_31                         // jump if edges required
GW_B1_E0_28:

/* edge=0, allocate 30 sgpr. perBatchTmpS=4 perBatchMaskS=0 perElementMaskS=2 elementsPerBatch=13 */
/* optSingleColVgpr=0 optSharedColVgpr=0 optSGPRUsage=None optSrdIncForRow=0 */
s_sleep 7 // optimization: sync and wait
s_barrier

/******************************************/
/* Global Write Alpha Beta Batch #0 (d1,d0,vc1,vc0) = */
/*    (0,0,0,0:vw2); (0,0,1,0:vw2); (0,0,2,0:vw2); (0,0,3,0:vw2); (1,0,0,0:vw2); (1,0,1,0:vw2); (1,0,2,0:vw2); (1,0,3,0:vw2); (2,0,0,0:vw2); (2,0,1,0:vw2); (2,0,2,0:vw2); (2,0,3,0:vw2); (3,0,0,0:vw2) */
/******************************************/

/* calc coords, apply mask, and issue loads (if necessary) */

/* rC *= alpha batchElements=[(0, 0, 0, 0), (0, 0, 1, 0), (0, 0, 2, 0), (0, 0, 3, 0), (1, 0, 0, 0), (1, 0, 1, 0), (1, 0, 2, 0), (1, 0, 3, 0), (2, 0, 0, 0), (2, 0, 1, 0), (2, 0, 2, 0), (2, 0, 3, 0), (3, 0, 0, 0)] */
v_mul_f32 v[vgprValuC+48], s[sgprAlpha], v[vgprValuC+0] // Multiply MI out reg with alpha
v_mul_f32 v[vgprValuC+49], s[sgprAlpha], v[vgprValuC+4] // Multiply MI out reg with alpha
	;; [unrolled: 1-line block ×26, first 2 shown]
/* (d1,vc1,d0,vc0)=(0,0,0,0) */
GLOBAL_OFFSET_C 44, 32, 33, sgprWorkGroup2, 40
v_mov_b32 v40, v44                                 // temp store offset 0
v_mov_b32 v41, v45                                 // temp store offset 1
_v_add_co_u32 v44, vcc, v36, v40                   // addrVgpr = C + index*bytes (lo)
_v_addc_co_u32 v45, vcc, v37, v41, vcc             // addrVgpr = C + index*bytes (hi)
_global_load_b64 v[46:47], v[44:45], off, offset:0,  sc0 sc1 // load C for beta calc
GLOBAL_OFFSET_D 44, 32, 33, sgprWorkGroup2, 40
v_mov_b32 v40, v44                                 // temp store offset 0
v_mov_b32 v41, v45                                 // temp store offset 1
_v_add_co_u32 v44, vcc, v34, v40                   // addrVgpr = D + index*bytes (lo)
_v_addc_co_u32 v45, vcc, v35, v41, vcc             // addrVgpr = D + index*bytes (hi)
/* (d1,vc1,d0,vc0)=(0,1,0,0) */
_v_add_co_u32 v33, vcc, v33, 1                     // coord1.1: coord1Vgpr += d1*sg1*VW + vc1
GLOBAL_OFFSET_C 50, 32, 33, sgprWorkGroup2, 40
v_mov_b32 v40, v50                                 // temp store offset 0
v_mov_b32 v41, v51                                 // temp store offset 1
_v_add_co_u32 v50, vcc, v36, v40                   // addrVgpr = C + index*bytes (lo)
_v_addc_co_u32 v51, vcc, v37, v41, vcc             // addrVgpr = C + index*bytes (hi)
_global_load_b64 v[52:53], v[50:51], off, offset:0,  sc0 sc1 // load C for beta calc
GLOBAL_OFFSET_D 50, 32, 33, sgprWorkGroup2, 40
v_mov_b32 v40, v50                                 // temp store offset 0
v_mov_b32 v41, v51                                 // temp store offset 1
_v_add_co_u32 v50, vcc, v34, v40                   // addrVgpr = D + index*bytes (lo)
_v_addc_co_u32 v51, vcc, v35, v41, vcc             // addrVgpr = D + index*bytes (hi)
/* (d1,vc1,d0,vc0)=(0,2,0,0) */
_v_add_co_u32 v33, vcc, v33, 1                     // coord1.1: coord1Vgpr += d1*sg1*VW + vc1
	;; [unrolled: 13-line block ×3, first 2 shown]
GLOBAL_OFFSET_C 62, 32, 33, sgprWorkGroup2, 40
v_mov_b32 v40, v62                                 // temp store offset 0
v_mov_b32 v41, v63                                 // temp store offset 1
_v_add_co_u32 v62, vcc, v36, v40                   // addrVgpr = C + index*bytes (lo)
_v_addc_co_u32 v63, vcc, v37, v41, vcc             // addrVgpr = C + index*bytes (hi)
_global_load_b64 v[64:65], v[62:63], off, offset:0,  sc0 sc1 // load C for beta calc
GLOBAL_OFFSET_D 62, 32, 33, sgprWorkGroup2, 40
v_mov_b32 v40, v62                                 // temp store offset 0
v_mov_b32 v41, v63                                 // temp store offset 1
_v_add_co_u32 v62, vcc, v34, v40                   // addrVgpr = D + index*bytes (lo)
_v_addc_co_u32 v63, vcc, v35, v41, vcc             // addrVgpr = D + index*bytes (hi)
/* (d1,vc1,d0,vc0)=(1,0,0,0) */
_v_add_co_u32 v33, vcc, v33, 13                    // coord1.1: coord1Vgpr += d1*sg1*VW + vc1
GLOBAL_OFFSET_C 68, 32, 33, sgprWorkGroup2, 40
v_mov_b32 v40, v68                                 // temp store offset 0
v_mov_b32 v41, v69                                 // temp store offset 1
_v_add_co_u32 v68, vcc, v36, v40                   // addrVgpr = C + index*bytes (lo)
_v_addc_co_u32 v69, vcc, v37, v41, vcc             // addrVgpr = C + index*bytes (hi)
_global_load_b64 v[70:71], v[68:69], off, offset:0,  sc0 sc1 // load C for beta calc
GLOBAL_OFFSET_D 68, 32, 33, sgprWorkGroup2, 40
v_mov_b32 v40, v68                                 // temp store offset 0
v_mov_b32 v41, v69                                 // temp store offset 1
_v_add_co_u32 v68, vcc, v34, v40                   // addrVgpr = D + index*bytes (lo)
_v_addc_co_u32 v69, vcc, v35, v41, vcc             // addrVgpr = D + index*bytes (hi)
/* (d1,vc1,d0,vc0)=(1,1,0,0) */
_v_add_co_u32 v33, vcc, v33, 1                     // coord1.1: coord1Vgpr += d1*sg1*VW + vc1
GLOBAL_OFFSET_C 74, 32, 33, sgprWorkGroup2, 40
v_mov_b32 v40, v74                                 // temp store offset 0
v_mov_b32 v41, v75                                 // temp store offset 1
_v_add_co_u32 v74, vcc, v36, v40                   // addrVgpr = C + index*bytes (lo)
_v_addc_co_u32 v75, vcc, v37, v41, vcc             // addrVgpr = C + index*bytes (hi)
_global_load_b64 v[76:77], v[74:75], off, offset:0,  sc0 sc1 // load C for beta calc
GLOBAL_OFFSET_D 74, 32, 33, sgprWorkGroup2, 40
v_mov_b32 v40, v74                                 // temp store offset 0
v_mov_b32 v41, v75                                 // temp store offset 1
_v_add_co_u32 v74, vcc, v34, v40                   // addrVgpr = D + index*bytes (lo)
_v_addc_co_u32 v75, vcc, v35, v41, vcc             // addrVgpr = D + index*bytes (hi)
/* (d1,vc1,d0,vc0)=(1,2,0,0) */
_v_add_co_u32 v33, vcc, v33, 1                     // coord1.1: coord1Vgpr += d1*sg1*VW + vc1
	;; [unrolled: 13-line block ×3, first 2 shown]
GLOBAL_OFFSET_C 90, 32, 33, sgprWorkGroup2, 40
v_mov_b32 v40, v90                                 // temp store offset 0
v_mov_b32 v41, v91                                 // temp store offset 1
_v_add_co_u32 v90, vcc, v36, v40                   // addrVgpr = C + index*bytes (lo)
_v_addc_co_u32 v91, vcc, v37, v41, vcc             // addrVgpr = C + index*bytes (hi)
_global_load_b64 v[92:93], v[90:91], off, offset:0,  sc0 sc1 // load C for beta calc
GLOBAL_OFFSET_D 90, 32, 33, sgprWorkGroup2, 40
v_mov_b32 v40, v90                                 // temp store offset 0
v_mov_b32 v41, v91                                 // temp store offset 1
_v_add_co_u32 v90, vcc, v34, v40                   // addrVgpr = D + index*bytes (lo)
_v_addc_co_u32 v91, vcc, v35, v41, vcc             // addrVgpr = D + index*bytes (hi)
/* (d1,vc1,d0,vc0)=(2,0,0,0) */
_v_add_co_u32 v33, vcc, v33, 13                    // coord1.1: coord1Vgpr += d1*sg1*VW + vc1
GLOBAL_OFFSET_C 96, 32, 33, sgprWorkGroup2, 40
v_mov_b32 v40, v96                                 // temp store offset 0
v_mov_b32 v41, v97                                 // temp store offset 1
_v_add_co_u32 v96, vcc, v36, v40                   // addrVgpr = C + index*bytes (lo)
_v_addc_co_u32 v97, vcc, v37, v41, vcc             // addrVgpr = C + index*bytes (hi)
_global_load_b64 v[98:99], v[96:97], off, offset:0,  sc0 sc1 // load C for beta calc
GLOBAL_OFFSET_D 96, 32, 33, sgprWorkGroup2, 40
v_mov_b32 v40, v96                                 // temp store offset 0
v_mov_b32 v41, v97                                 // temp store offset 1
_v_add_co_u32 v96, vcc, v34, v40                   // addrVgpr = D + index*bytes (lo)
_v_addc_co_u32 v97, vcc, v35, v41, vcc             // addrVgpr = D + index*bytes (hi)
/* (d1,vc1,d0,vc0)=(2,1,0,0) */
_v_add_co_u32 v33, vcc, v33, 1                     // coord1.1: coord1Vgpr += d1*sg1*VW + vc1
GLOBAL_OFFSET_C 102, 32, 33, sgprWorkGroup2, 40
v_mov_b32 v40, v102                                // temp store offset 0
v_mov_b32 v41, v103                                // temp store offset 1
_v_add_co_u32 v102, vcc, v36, v40                  // addrVgpr = C + index*bytes (lo)
_v_addc_co_u32 v103, vcc, v37, v41, vcc            // addrVgpr = C + index*bytes (hi)
_global_load_b64 v[104:105], v[102:103], off, offset:0,  sc0 sc1 // load C for beta calc
GLOBAL_OFFSET_D 102, 32, 33, sgprWorkGroup2, 40
v_mov_b32 v40, v102                                // temp store offset 0
v_mov_b32 v41, v103                                // temp store offset 1
_v_add_co_u32 v102, vcc, v34, v40                  // addrVgpr = D + index*bytes (lo)
_v_addc_co_u32 v103, vcc, v35, v41, vcc            // addrVgpr = D + index*bytes (hi)
/* (d1,vc1,d0,vc0)=(2,2,0,0) */
_v_add_co_u32 v33, vcc, v33, 1                     // coord1.1: coord1Vgpr += d1*sg1*VW + vc1
GLOBAL_OFFSET_C 108, 32, 33, sgprWorkGroup2, 40
v_mov_b32 v40, v108                                // temp store offset 0
v_mov_b32 v41, v109                                // temp store offset 1
_v_add_co_u32 v108, vcc, v36, v40                  // addrVgpr = C + index*bytes (lo)
_v_addc_co_u32 v109, vcc, v37, v41, vcc            // addrVgpr = C + index*bytes (hi)
_global_load_b64 v[110:111], v[108:109], off, offset:0,  sc0 sc1 // load C for beta calc
GLOBAL_OFFSET_D 108, 32, 33, sgprWorkGroup2, 40
v_mov_b32 v40, v108                                // temp store offset 0
v_mov_b32 v41, v109                                // temp store offset 1
_v_add_co_u32 v108, vcc, v34, v40                  // addrVgpr = D + index*bytes (lo)
_v_addc_co_u32 v109, vcc, v35, v41, vcc            // addrVgpr = D + index*bytes (hi)
	;; [unrolled: 13-line block ×3, first 2 shown]
/* (d1,vc1,d0,vc0)=(3,0,0,0) */
_v_add_co_u32 v33, vcc, v33, 13                    // coord1.1: coord1Vgpr += d1*sg1*VW + vc1
GLOBAL_OFFSET_C 120, 32, 33, sgprWorkGroup2, 40
v_mov_b32 v40, v120                                // temp store offset 0
v_mov_b32 v41, v121                                // temp store offset 1
_v_add_co_u32 v120, vcc, v36, v40                  // addrVgpr = C + index*bytes (lo)
_v_addc_co_u32 v121, vcc, v37, v41, vcc            // addrVgpr = C + index*bytes (hi)
_global_load_b64 v[122:123], v[120:121], off, offset:0,  sc0 sc1 // load C for beta calc
GLOBAL_OFFSET_D 120, 32, 33, sgprWorkGroup2, 40
v_mov_b32 v40, v120                                // temp store offset 0
v_mov_b32 v41, v121                                // temp store offset 1
_v_add_co_u32 v120, vcc, v34, v40                  // addrVgpr = D + index*bytes (lo)
_v_addc_co_u32 v121, vcc, v35, v41, vcc            // addrVgpr = D + index*bytes (hi)
s_sleep 7 // optimization: sync and wait
s_barrier
s_waitcnt vmcnt(0)                                 // wait C

/* apply mask, calc new C and issue writes */
_v_mac_f32 v[vgprValuC+48], v46, s[sgprBeta]       // finalSum = sum*alpha + C*beta
_v_mac_f32 v[vgprValuC+49], v47, s[sgprBeta]       // finalSum = sum*alpha + C*beta
_global_store_b64 v[44:45], v[48:49], off,  sc0 sc1 // store D
_v_mac_f32 v[vgprValuC+54], v52, s[sgprBeta]       // finalSum = sum*alpha + C*beta
_v_mac_f32 v[vgprValuC+55], v53, s[sgprBeta]       // finalSum = sum*alpha + C*beta
_global_store_b64 v[50:51], v[54:55], off,  sc0 sc1 // store D
	;; [unrolled: 3-line block ×8, first 2 shown]
_v_mac_f32 v[vgprValuC+100], v98, s[sgprBeta]      // finalSum = sum*alpha + C*beta
_v_mac_f32 v[vgprValuC+101], v99, s[sgprBeta]      // finalSum = sum*alpha + C*beta
_global_store_b64 v[96:97], v[100:101], off,  sc0 sc1 // store D
_v_mac_f32 v[vgprValuC+106], v104, s[sgprBeta]     // finalSum = sum*alpha + C*beta
_v_mac_f32 v[vgprValuC+107], v105, s[sgprBeta]     // finalSum = sum*alpha + C*beta
_global_store_b64 v[102:103], v[106:107], off,  sc0 sc1 // store D
_v_mac_f32 v[vgprValuC+112], v110, s[sgprBeta]     // finalSum = sum*alpha + C*beta
_v_mac_f32 v[vgprValuC+113], v111, s[sgprBeta]     // finalSum = sum*alpha + C*beta
	;; [unrolled: 3-line block ×4, first 2 shown]
_global_store_b64 v[120:121], v[124:125], off,  sc0 sc1 // store D
s_nop 0                                            // 1 wait state required when next inst writes vgprs held by previous dwordx4 store inst
/* optSingleColVgpr=0 optSharedColVgpr=0 optSGPRUsage=None optSrdIncForRow=0 */
s_sleep 7 // optimization: sync and wait
s_barrier

/******************************************/
/* Global Write Alpha Beta Batch #1 (d1,d0,vc1,vc0) = */
/*    (3,0,1,0:vw2); (3,0,2,0:vw2); (3,0,3,0:vw2) */
/******************************************/

/* calc coords, apply mask, and issue loads (if necessary) */

/* rC *= alpha batchElements=[(3, 0, 1, 0), (3, 0, 2, 0), (3, 0, 3, 0)] */
v_mul_f32 v[vgprValuC+48], s[sgprAlpha], v[vgprValuC+25] // Multiply MI out reg with alpha
v_mul_f32 v[vgprValuC+49], s[sgprAlpha], v[vgprValuC+29] // Multiply MI out reg with alpha
	;; [unrolled: 1-line block ×6, first 2 shown]
/* (d1,vc1,d0,vc0)=(3,1,0,0) */
_v_add_co_u32 v33, vcc, v33, 1                     // coord1.1: coord1Vgpr += d1*sg1*VW + vc1
GLOBAL_OFFSET_C 44, 32, 33, sgprWorkGroup2, 40
v_mov_b32 v40, v44                                 // temp store offset 0
v_mov_b32 v41, v45                                 // temp store offset 1
_v_add_co_u32 v44, vcc, v36, v40                   // addrVgpr = C + index*bytes (lo)
_v_addc_co_u32 v45, vcc, v37, v41, vcc             // addrVgpr = C + index*bytes (hi)
_global_load_b64 v[46:47], v[44:45], off, offset:0,  sc0 sc1 // load C for beta calc
GLOBAL_OFFSET_D 44, 32, 33, sgprWorkGroup2, 40
v_mov_b32 v40, v44                                 // temp store offset 0
v_mov_b32 v41, v45                                 // temp store offset 1
_v_add_co_u32 v44, vcc, v34, v40                   // addrVgpr = D + index*bytes (lo)
_v_addc_co_u32 v45, vcc, v35, v41, vcc             // addrVgpr = D + index*bytes (hi)
/* (d1,vc1,d0,vc0)=(3,2,0,0) */
_v_add_co_u32 v33, vcc, v33, 1                     // coord1.1: coord1Vgpr += d1*sg1*VW + vc1
GLOBAL_OFFSET_C 50, 32, 33, sgprWorkGroup2, 40
v_mov_b32 v40, v50                                 // temp store offset 0
v_mov_b32 v41, v51                                 // temp store offset 1
_v_add_co_u32 v50, vcc, v36, v40                   // addrVgpr = C + index*bytes (lo)
_v_addc_co_u32 v51, vcc, v37, v41, vcc             // addrVgpr = C + index*bytes (hi)
_global_load_b64 v[52:53], v[50:51], off, offset:0,  sc0 sc1 // load C for beta calc
GLOBAL_OFFSET_D 50, 32, 33, sgprWorkGroup2, 40
v_mov_b32 v40, v50                                 // temp store offset 0
v_mov_b32 v41, v51                                 // temp store offset 1
_v_add_co_u32 v50, vcc, v34, v40                   // addrVgpr = D + index*bytes (lo)
_v_addc_co_u32 v51, vcc, v35, v41, vcc             // addrVgpr = D + index*bytes (hi)
/* (d1,vc1,d0,vc0)=(3,3,0,0) */
_v_add_co_u32 v33, vcc, v33, 1                     // coord1.1: coord1Vgpr += d1*sg1*VW + vc1
GLOBAL_OFFSET_C 56, 32, 33, sgprWorkGroup2, 40
v_mov_b32 v40, v56                                 // temp store offset 0
v_mov_b32 v41, v57                                 // temp store offset 1
_v_add_co_u32 v56, vcc, v36, v40                   // addrVgpr = C + index*bytes (lo)
_v_addc_co_u32 v57, vcc, v37, v41, vcc             // addrVgpr = C + index*bytes (hi)
_global_load_b64 v[58:59], v[56:57], off, offset:0,  sc0 sc1 // load C for beta calc
GLOBAL_OFFSET_D 56, 32, 33, sgprWorkGroup2, 40
v_mov_b32 v40, v56                                 // temp store offset 0
v_mov_b32 v41, v57                                 // temp store offset 1
_v_add_co_u32 v56, vcc, v34, v40                   // addrVgpr = D + index*bytes (lo)
_v_addc_co_u32 v57, vcc, v35, v41, vcc             // addrVgpr = D + index*bytes (hi)
s_sleep 7 // optimization: sync and wait
s_barrier
s_waitcnt vmcnt(0)                                 // wait C

/* apply mask, calc new C and issue writes */
_v_mac_f32 v[vgprValuC+48], v46, s[sgprBeta]       // finalSum = sum*alpha + C*beta
_v_mac_f32 v[vgprValuC+49], v47, s[sgprBeta]       // finalSum = sum*alpha + C*beta
_global_store_b64 v[44:45], v[48:49], off,  sc0 sc1 // store D
_v_mac_f32 v[vgprValuC+54], v52, s[sgprBeta]       // finalSum = sum*alpha + C*beta
_v_mac_f32 v[vgprValuC+55], v53, s[sgprBeta]       // finalSum = sum*alpha + C*beta
_global_store_b64 v[50:51], v[54:55], off,  sc0 sc1 // store D
	;; [unrolled: 3-line block ×3, first 2 shown]
s_nop 0                                            // 1 wait state required when next inst writes vgprs held by previous dwordx4 store inst
s_branch label_GW_End_32                           // jump to end
GW_B1_E1_31:

/* edge=1, allocate 44 sgpr. perBatchTmpS=4 perBatchMaskS=0 perElementMaskS=2 elementsPerBatch=20 */
/* optSingleColVgpr=0 optSharedColVgpr=0 optSGPRUsage=None optSrdIncForRow=0 */
s_sleep 7 // optimization: sync and wait
s_barrier

/******************************************/
/* Global Write Alpha Beta Edge Batch #0 (d1,d0,vc1,vc0) = */
/*    (0,0,0,0:vw1); (0,0,0,1:vw1); (0,0,1,0:vw1); (0,0,1,1:vw1); (0,0,2,0:vw1); (0,0,2,1:vw1); (0,0,3,0:vw1); (0,0,3,1:vw1); (1,0,0,0:vw1); (1,0,0,1:vw1); (1,0,1,0:vw1); (1,0,1,1:vw1); (1,0,2,0:vw1); (1,0,2,1:vw1); (1,0,3,0:vw1); (1,0,3,1:vw1); (2,0,0,0:vw1); (2,0,0,1:vw1); (2,0,1,0:vw1); (2,0,1,1:vw1) */
/******************************************/

/* calc coords, apply mask, and issue loads (if necessary) */

/* rC *= alpha batchElements=[(0, 0, 0, 0), (0, 0, 0, 1), (0, 0, 1, 0), (0, 0, 1, 1), (0, 0, 2, 0), (0, 0, 2, 1), (0, 0, 3, 0), (0, 0, 3, 1), (1, 0, 0, 0), (1, 0, 0, 1), (1, 0, 1, 0), (1, 0, 1, 1), (1, 0, 2, 0), (1, 0, 2, 1), (1, 0, 3, 0), (1, 0, 3, 1), (2, 0, 0, 0), (2, 0, 0, 1), (2, 0, 1, 0), (2, 0, 1, 1)] */
v_mul_f32 v[vgprValuC+46], s[sgprAlpha], v[vgprValuC+0] // Multiply MI out reg with alpha
v_mul_f32 v[vgprValuC+50], s[sgprAlpha], v[vgprValuC+4] // Multiply MI out reg with alpha
v_mul_f32 v[vgprValuC+54], s[sgprAlpha], v[vgprValuC+1] // Multiply MI out reg with alpha
v_mul_f32 v[vgprValuC+58], s[sgprAlpha], v[vgprValuC+5] // Multiply MI out reg with alpha
v_mul_f32 v[vgprValuC+62], s[sgprAlpha], v[vgprValuC+2] // Multiply MI out reg with alpha
v_mul_f32 v[vgprValuC+66], s[sgprAlpha], v[vgprValuC+6] // Multiply MI out reg with alpha
v_mul_f32 v[vgprValuC+70], s[sgprAlpha], v[vgprValuC+3] // Multiply MI out reg with alpha
v_mul_f32 v[vgprValuC+74], s[sgprAlpha], v[vgprValuC+7] // Multiply MI out reg with alpha
v_mul_f32 v[vgprValuC+78], s[sgprAlpha], v[vgprValuC+8] // Multiply MI out reg with alpha
v_mul_f32 v[vgprValuC+83], s[sgprAlpha], v[vgprValuC+12] // Multiply MI out reg with alpha
v_mul_f32 v[vgprValuC+89], s[sgprAlpha], v[vgprValuC+9] // Multiply MI out reg with alpha
v_mul_f32 v[vgprValuC+93], s[sgprAlpha], v[vgprValuC+13] // Multiply MI out reg with alpha
v_mul_f32 v[vgprValuC+97], s[sgprAlpha], v[vgprValuC+10] // Multiply MI out reg with alpha
v_mul_f32 v[vgprValuC+101], s[sgprAlpha], v[vgprValuC+14] // Multiply MI out reg with alpha
v_mul_f32 v[vgprValuC+105], s[sgprAlpha], v[vgprValuC+11] // Multiply MI out reg with alpha
v_mul_f32 v[vgprValuC+109], s[sgprAlpha], v[vgprValuC+15] // Multiply MI out reg with alpha
v_mul_f32 v[vgprValuC+113], s[sgprAlpha], v[vgprValuC+16] // Multiply MI out reg with alpha
v_mul_f32 v[vgprValuC+117], s[sgprAlpha], v[vgprValuC+20] // Multiply MI out reg with alpha
v_mul_f32 v[vgprValuC+121], s[sgprAlpha], v[vgprValuC+17] // Multiply MI out reg with alpha
v_mul_f32 v[vgprValuC+125], s[sgprAlpha], v[vgprValuC+21] // Multiply MI out reg with alpha
/* (d1,vc1,d0,vc0)=(0,0,0,0) */
GLOBAL_OFFSET_C 44, 32, 33, sgprWorkGroup2, 40
v_mov_b32 v40, v44                                 // temp store offset 0
v_mov_b32 v41, v45                                 // temp store offset 1
v_cmp_lt_u32 s[36:37], v32, s[sgprSizesFree+0]     // coord0 < size0
v_cmp_lt_u32 s[38:39], v33, s[sgprSizesFree+1]     // coord1 < size1
s_and_b64 s[40:41], s[36:37], s[38:39]             // in0 && in1
s_mov_b64 exec, s[40:41]                           // sgprs -> exec
_v_add_co_u32 v44, vcc, v36, v40                   // addrVgpr = C + index*bytes (lo)
_v_addc_co_u32 v45, vcc, v37, v41, vcc             // addrVgpr = C + index*bytes (hi)
_global_load_b32 v43, v[44:45], off, offset:0,  sc0 sc1 // load C for beta calc
GLOBAL_OFFSET_D 44, 32, 33, sgprWorkGroup2, 40
v_mov_b32 v40, v44                                 // temp store offset 0
v_mov_b32 v41, v45                                 // temp store offset 1
v_cmp_lt_u32 s[36:37], v32, s[sgprSizesFree+0]     // coord0 < size0
v_cmp_lt_u32 s[38:39], v33, s[sgprSizesFree+1]     // coord1 < size1
s_and_b64 s[40:41], s[36:37], s[38:39]             // in0 && in1
s_mov_b64 exec, s[40:41]                           // sgprs -> exec
_v_add_co_u32 v44, vcc, v34, v40                   // addrVgpr = D + index*bytes (lo)
_v_addc_co_u32 v45, vcc, v35, v41, vcc             // addrVgpr = D + index*bytes (hi)
s_mov_b64 exec, -1                                 // full mask -1 -> exec
/* (d1,vc1,d0,vc0)=(0,0,0,1) */
_v_add_co_u32 v38, vcc, v32, 1                     // coord0.1: coord0 += d0*sg0*VW + vc0
GLOBAL_OFFSET_C 48, 38, 33, sgprWorkGroup2, 40
v_mov_b32 v40, v48                                 // temp store offset 0
v_mov_b32 v41, v49                                 // temp store offset 1
v_cmp_lt_u32 s[36:37], v38, s[sgprSizesFree+0]     // coord0 < size0
v_cmp_lt_u32 s[38:39], v33, s[sgprSizesFree+1]     // coord1 < size1
s_and_b64 s[42:43], s[36:37], s[38:39]             // in0 && in1
s_mov_b64 exec, s[42:43]                           // sgprs -> exec
_v_add_co_u32 v48, vcc, v36, v40                   // addrVgpr = C + index*bytes (lo)
_v_addc_co_u32 v49, vcc, v37, v41, vcc             // addrVgpr = C + index*bytes (hi)
_global_load_b32 v47, v[48:49], off, offset:0,  sc0 sc1 // load C for beta calc
GLOBAL_OFFSET_D 48, 38, 33, sgprWorkGroup2, 40
v_mov_b32 v40, v48                                 // temp store offset 0
v_mov_b32 v41, v49                                 // temp store offset 1
v_cmp_lt_u32 s[36:37], v38, s[sgprSizesFree+0]     // coord0 < size0
v_cmp_lt_u32 s[38:39], v33, s[sgprSizesFree+1]     // coord1 < size1
s_and_b64 s[42:43], s[36:37], s[38:39]             // in0 && in1
s_mov_b64 exec, s[42:43]                           // sgprs -> exec
_v_add_co_u32 v48, vcc, v34, v40                   // addrVgpr = D + index*bytes (lo)
_v_addc_co_u32 v49, vcc, v35, v41, vcc             // addrVgpr = D + index*bytes (hi)
s_mov_b64 exec, -1                                 // full mask -1 -> exec
/* (d1,vc1,d0,vc0)=(0,1,0,0) */
_v_add_co_u32 v33, vcc, v33, 1                     // coord1.1: coord1Vgpr += d1*sg1*VW + vc1
GLOBAL_OFFSET_C 52, 32, 33, sgprWorkGroup2, 40
v_mov_b32 v40, v52                                 // temp store offset 0
v_mov_b32 v41, v53                                 // temp store offset 1
v_cmp_lt_u32 s[36:37], v32, s[sgprSizesFree+0]     // coord0 < size0
v_cmp_lt_u32 s[38:39], v33, s[sgprSizesFree+1]     // coord1 < size1
s_and_b64 s[44:45], s[36:37], s[38:39]             // in0 && in1
s_mov_b64 exec, s[44:45]                           // sgprs -> exec
_v_add_co_u32 v52, vcc, v36, v40                   // addrVgpr = C + index*bytes (lo)
_v_addc_co_u32 v53, vcc, v37, v41, vcc             // addrVgpr = C + index*bytes (hi)
_global_load_b32 v51, v[52:53], off, offset:0,  sc0 sc1 // load C for beta calc
GLOBAL_OFFSET_D 52, 32, 33, sgprWorkGroup2, 40
v_mov_b32 v40, v52                                 // temp store offset 0
v_mov_b32 v41, v53                                 // temp store offset 1
v_cmp_lt_u32 s[36:37], v32, s[sgprSizesFree+0]     // coord0 < size0
v_cmp_lt_u32 s[38:39], v33, s[sgprSizesFree+1]     // coord1 < size1
s_and_b64 s[44:45], s[36:37], s[38:39]             // in0 && in1
s_mov_b64 exec, s[44:45]                           // sgprs -> exec
_v_add_co_u32 v52, vcc, v34, v40                   // addrVgpr = D + index*bytes (lo)
_v_addc_co_u32 v53, vcc, v35, v41, vcc             // addrVgpr = D + index*bytes (hi)
s_mov_b64 exec, -1                                 // full mask -1 -> exec
/* (d1,vc1,d0,vc0)=(0,1,0,1) */
_v_add_co_u32 v38, vcc, v32, 1                     // coord0.1: coord0 += d0*sg0*VW + vc0
GLOBAL_OFFSET_C 56, 38, 33, sgprWorkGroup2, 40
v_mov_b32 v40, v56                                 // temp store offset 0
v_mov_b32 v41, v57                                 // temp store offset 1
v_cmp_lt_u32 s[36:37], v38, s[sgprSizesFree+0]     // coord0 < size0
v_cmp_lt_u32 s[38:39], v33, s[sgprSizesFree+1]     // coord1 < size1
s_and_b64 s[46:47], s[36:37], s[38:39]             // in0 && in1
s_mov_b64 exec, s[46:47]                           // sgprs -> exec
_v_add_co_u32 v56, vcc, v36, v40                   // addrVgpr = C + index*bytes (lo)
_v_addc_co_u32 v57, vcc, v37, v41, vcc             // addrVgpr = C + index*bytes (hi)
_global_load_b32 v55, v[56:57], off, offset:0,  sc0 sc1 // load C for beta calc
GLOBAL_OFFSET_D 56, 38, 33, sgprWorkGroup2, 40
v_mov_b32 v40, v56                                 // temp store offset 0
v_mov_b32 v41, v57                                 // temp store offset 1
v_cmp_lt_u32 s[36:37], v38, s[sgprSizesFree+0]     // coord0 < size0
v_cmp_lt_u32 s[38:39], v33, s[sgprSizesFree+1]     // coord1 < size1
s_and_b64 s[46:47], s[36:37], s[38:39]             // in0 && in1
s_mov_b64 exec, s[46:47]                           // sgprs -> exec
_v_add_co_u32 v56, vcc, v34, v40                   // addrVgpr = D + index*bytes (lo)
_v_addc_co_u32 v57, vcc, v35, v41, vcc             // addrVgpr = D + index*bytes (hi)
s_mov_b64 exec, -1                                 // full mask -1 -> exec
/* (d1,vc1,d0,vc0)=(0,2,0,0) */
_v_add_co_u32 v33, vcc, v33, 1                     // coord1.1: coord1Vgpr += d1*sg1*VW + vc1
	;; [unrolled: 44-line block ×3, first 2 shown]
GLOBAL_OFFSET_C 68, 32, 33, sgprWorkGroup2, 40
v_mov_b32 v40, v68                                 // temp store offset 0
v_mov_b32 v41, v69                                 // temp store offset 1
v_cmp_lt_u32 s[36:37], v32, s[sgprSizesFree+0]     // coord0 < size0
v_cmp_lt_u32 s[38:39], v33, s[sgprSizesFree+1]     // coord1 < size1
s_and_b64 s[52:53], s[36:37], s[38:39]             // in0 && in1
s_mov_b64 exec, s[52:53]                           // sgprs -> exec
_v_add_co_u32 v68, vcc, v36, v40                   // addrVgpr = C + index*bytes (lo)
_v_addc_co_u32 v69, vcc, v37, v41, vcc             // addrVgpr = C + index*bytes (hi)
_global_load_b32 v67, v[68:69], off, offset:0,  sc0 sc1 // load C for beta calc
GLOBAL_OFFSET_D 68, 32, 33, sgprWorkGroup2, 40
v_mov_b32 v40, v68                                 // temp store offset 0
v_mov_b32 v41, v69                                 // temp store offset 1
v_cmp_lt_u32 s[36:37], v32, s[sgprSizesFree+0]     // coord0 < size0
v_cmp_lt_u32 s[38:39], v33, s[sgprSizesFree+1]     // coord1 < size1
s_and_b64 s[52:53], s[36:37], s[38:39]             // in0 && in1
s_mov_b64 exec, s[52:53]                           // sgprs -> exec
_v_add_co_u32 v68, vcc, v34, v40                   // addrVgpr = D + index*bytes (lo)
_v_addc_co_u32 v69, vcc, v35, v41, vcc             // addrVgpr = D + index*bytes (hi)
s_mov_b64 exec, -1                                 // full mask -1 -> exec
/* (d1,vc1,d0,vc0)=(0,3,0,1) */
_v_add_co_u32 v38, vcc, v32, 1                     // coord0.1: coord0 += d0*sg0*VW + vc0
GLOBAL_OFFSET_C 72, 38, 33, sgprWorkGroup2, 40
v_mov_b32 v40, v72                                 // temp store offset 0
v_mov_b32 v41, v73                                 // temp store offset 1
v_cmp_lt_u32 s[36:37], v38, s[sgprSizesFree+0]     // coord0 < size0
v_cmp_lt_u32 s[38:39], v33, s[sgprSizesFree+1]     // coord1 < size1
s_and_b64 s[54:55], s[36:37], s[38:39]             // in0 && in1
s_mov_b64 exec, s[54:55]                           // sgprs -> exec
_v_add_co_u32 v72, vcc, v36, v40                   // addrVgpr = C + index*bytes (lo)
_v_addc_co_u32 v73, vcc, v37, v41, vcc             // addrVgpr = C + index*bytes (hi)
_global_load_b32 v71, v[72:73], off, offset:0,  sc0 sc1 // load C for beta calc
GLOBAL_OFFSET_D 72, 38, 33, sgprWorkGroup2, 40
v_mov_b32 v40, v72                                 // temp store offset 0
v_mov_b32 v41, v73                                 // temp store offset 1
v_cmp_lt_u32 s[36:37], v38, s[sgprSizesFree+0]     // coord0 < size0
v_cmp_lt_u32 s[38:39], v33, s[sgprSizesFree+1]     // coord1 < size1
s_and_b64 s[54:55], s[36:37], s[38:39]             // in0 && in1
s_mov_b64 exec, s[54:55]                           // sgprs -> exec
_v_add_co_u32 v72, vcc, v34, v40                   // addrVgpr = D + index*bytes (lo)
_v_addc_co_u32 v73, vcc, v35, v41, vcc             // addrVgpr = D + index*bytes (hi)
s_mov_b64 exec, -1                                 // full mask -1 -> exec
/* (d1,vc1,d0,vc0)=(1,0,0,0) */
_v_add_co_u32 v33, vcc, v33, 13                    // coord1.1: coord1Vgpr += d1*sg1*VW + vc1
GLOBAL_OFFSET_C 76, 32, 33, sgprWorkGroup2, 40
v_mov_b32 v40, v76                                 // temp store offset 0
v_mov_b32 v41, v77                                 // temp store offset 1
v_cmp_lt_u32 s[36:37], v32, s[sgprSizesFree+0]     // coord0 < size0
v_cmp_lt_u32 s[38:39], v33, s[sgprSizesFree+1]     // coord1 < size1
s_and_b64 s[56:57], s[36:37], s[38:39]             // in0 && in1
s_mov_b64 exec, s[56:57]                           // sgprs -> exec
_v_add_co_u32 v76, vcc, v36, v40                   // addrVgpr = C + index*bytes (lo)
_v_addc_co_u32 v77, vcc, v37, v41, vcc             // addrVgpr = C + index*bytes (hi)
_global_load_b32 v75, v[76:77], off, offset:0,  sc0 sc1 // load C for beta calc
GLOBAL_OFFSET_D 76, 32, 33, sgprWorkGroup2, 40
v_mov_b32 v40, v76                                 // temp store offset 0
v_mov_b32 v41, v77                                 // temp store offset 1
v_cmp_lt_u32 s[36:37], v32, s[sgprSizesFree+0]     // coord0 < size0
v_cmp_lt_u32 s[38:39], v33, s[sgprSizesFree+1]     // coord1 < size1
s_and_b64 s[56:57], s[36:37], s[38:39]             // in0 && in1
s_mov_b64 exec, s[56:57]                           // sgprs -> exec
_v_add_co_u32 v76, vcc, v34, v40                   // addrVgpr = D + index*bytes (lo)
_v_addc_co_u32 v77, vcc, v35, v41, vcc             // addrVgpr = D + index*bytes (hi)
s_mov_b64 exec, -1                                 // full mask -1 -> exec
/* (d1,vc1,d0,vc0)=(1,0,0,1) */
_v_add_co_u32 v38, vcc, v32, 1                     // coord0.1: coord0 += d0*sg0*VW + vc0
GLOBAL_OFFSET_C 84, 38, 33, sgprWorkGroup2, 40
v_mov_b32 v40, v84                                 // temp store offset 0
v_mov_b32 v41, v85                                 // temp store offset 1
v_cmp_lt_u32 s[36:37], v38, s[sgprSizesFree+0]     // coord0 < size0
v_cmp_lt_u32 s[38:39], v33, s[sgprSizesFree+1]     // coord1 < size1
s_and_b64 s[58:59], s[36:37], s[38:39]             // in0 && in1
s_mov_b64 exec, s[58:59]                           // sgprs -> exec
_v_add_co_u32 v84, vcc, v36, v40                   // addrVgpr = C + index*bytes (lo)
_v_addc_co_u32 v85, vcc, v37, v41, vcc             // addrVgpr = C + index*bytes (hi)
_global_load_b32 v79, v[84:85], off, offset:0,  sc0 sc1 // load C for beta calc
GLOBAL_OFFSET_D 84, 38, 33, sgprWorkGroup2, 40
v_mov_b32 v40, v84                                 // temp store offset 0
v_mov_b32 v41, v85                                 // temp store offset 1
v_cmp_lt_u32 s[36:37], v38, s[sgprSizesFree+0]     // coord0 < size0
v_cmp_lt_u32 s[38:39], v33, s[sgprSizesFree+1]     // coord1 < size1
s_and_b64 s[58:59], s[36:37], s[38:39]             // in0 && in1
s_mov_b64 exec, s[58:59]                           // sgprs -> exec
_v_add_co_u32 v84, vcc, v34, v40                   // addrVgpr = D + index*bytes (lo)
_v_addc_co_u32 v85, vcc, v35, v41, vcc             // addrVgpr = D + index*bytes (hi)
s_mov_b64 exec, -1                                 // full mask -1 -> exec
/* (d1,vc1,d0,vc0)=(1,1,0,0) */
_v_add_co_u32 v33, vcc, v33, 1                     // coord1.1: coord1Vgpr += d1*sg1*VW + vc1
GLOBAL_OFFSET_C 86, 32, 33, sgprWorkGroup2, 40
v_mov_b32 v40, v86                                 // temp store offset 0
v_mov_b32 v41, v87                                 // temp store offset 1
v_cmp_lt_u32 s[36:37], v32, s[sgprSizesFree+0]     // coord0 < size0
v_cmp_lt_u32 s[38:39], v33, s[sgprSizesFree+1]     // coord1 < size1
s_and_b64 s[60:61], s[36:37], s[38:39]             // in0 && in1
s_mov_b64 exec, s[60:61]                           // sgprs -> exec
_v_add_co_u32 v86, vcc, v36, v40                   // addrVgpr = C + index*bytes (lo)
_v_addc_co_u32 v87, vcc, v37, v41, vcc             // addrVgpr = C + index*bytes (hi)
_global_load_b32 v88, v[86:87], off, offset:0,  sc0 sc1 // load C for beta calc
GLOBAL_OFFSET_D 86, 32, 33, sgprWorkGroup2, 40
v_mov_b32 v40, v86                                 // temp store offset 0
v_mov_b32 v41, v87                                 // temp store offset 1
v_cmp_lt_u32 s[36:37], v32, s[sgprSizesFree+0]     // coord0 < size0
v_cmp_lt_u32 s[38:39], v33, s[sgprSizesFree+1]     // coord1 < size1
s_and_b64 s[60:61], s[36:37], s[38:39]             // in0 && in1
s_mov_b64 exec, s[60:61]                           // sgprs -> exec
_v_add_co_u32 v86, vcc, v34, v40                   // addrVgpr = D + index*bytes (lo)
_v_addc_co_u32 v87, vcc, v35, v41, vcc             // addrVgpr = D + index*bytes (hi)
s_mov_b64 exec, -1                                 // full mask -1 -> exec
/* (d1,vc1,d0,vc0)=(1,1,0,1) */
_v_add_co_u32 v38, vcc, v32, 1                     // coord0.1: coord0 += d0*sg0*VW + vc0
GLOBAL_OFFSET_C 90, 38, 33, sgprWorkGroup2, 40
v_mov_b32 v40, v90                                 // temp store offset 0
v_mov_b32 v41, v91                                 // temp store offset 1
v_cmp_lt_u32 s[36:37], v38, s[sgprSizesFree+0]     // coord0 < size0
v_cmp_lt_u32 s[38:39], v33, s[sgprSizesFree+1]     // coord1 < size1
s_and_b64 s[62:63], s[36:37], s[38:39]             // in0 && in1
s_mov_b64 exec, s[62:63]                           // sgprs -> exec
_v_add_co_u32 v90, vcc, v36, v40                   // addrVgpr = C + index*bytes (lo)
_v_addc_co_u32 v91, vcc, v37, v41, vcc             // addrVgpr = C + index*bytes (hi)
_global_load_b32 v92, v[90:91], off, offset:0,  sc0 sc1 // load C for beta calc
GLOBAL_OFFSET_D 90, 38, 33, sgprWorkGroup2, 40
v_mov_b32 v40, v90                                 // temp store offset 0
v_mov_b32 v41, v91                                 // temp store offset 1
v_cmp_lt_u32 s[36:37], v38, s[sgprSizesFree+0]     // coord0 < size0
v_cmp_lt_u32 s[38:39], v33, s[sgprSizesFree+1]     // coord1 < size1
s_and_b64 s[62:63], s[36:37], s[38:39]             // in0 && in1
s_mov_b64 exec, s[62:63]                           // sgprs -> exec
_v_add_co_u32 v90, vcc, v34, v40                   // addrVgpr = D + index*bytes (lo)
_v_addc_co_u32 v91, vcc, v35, v41, vcc             // addrVgpr = D + index*bytes (hi)
s_mov_b64 exec, -1                                 // full mask -1 -> exec
/* (d1,vc1,d0,vc0)=(1,2,0,0) */
_v_add_co_u32 v33, vcc, v33, 1                     // coord1.1: coord1Vgpr += d1*sg1*VW + vc1
	;; [unrolled: 44-line block ×3, first 2 shown]
GLOBAL_OFFSET_C 102, 32, 33, sgprWorkGroup2, 40
v_mov_b32 v40, v102                                // temp store offset 0
v_mov_b32 v41, v103                                // temp store offset 1
v_cmp_lt_u32 s[36:37], v32, s[sgprSizesFree+0]     // coord0 < size0
v_cmp_lt_u32 s[38:39], v33, s[sgprSizesFree+1]     // coord1 < size1
s_and_b64 s[68:69], s[36:37], s[38:39]             // in0 && in1
s_mov_b64 exec, s[68:69]                           // sgprs -> exec
_v_add_co_u32 v102, vcc, v36, v40                  // addrVgpr = C + index*bytes (lo)
_v_addc_co_u32 v103, vcc, v37, v41, vcc            // addrVgpr = C + index*bytes (hi)
_global_load_b32 v104, v[102:103], off, offset:0,  sc0 sc1 // load C for beta calc
GLOBAL_OFFSET_D 102, 32, 33, sgprWorkGroup2, 40
v_mov_b32 v40, v102                                // temp store offset 0
v_mov_b32 v41, v103                                // temp store offset 1
v_cmp_lt_u32 s[36:37], v32, s[sgprSizesFree+0]     // coord0 < size0
v_cmp_lt_u32 s[38:39], v33, s[sgprSizesFree+1]     // coord1 < size1
s_and_b64 s[68:69], s[36:37], s[38:39]             // in0 && in1
s_mov_b64 exec, s[68:69]                           // sgprs -> exec
_v_add_co_u32 v102, vcc, v34, v40                  // addrVgpr = D + index*bytes (lo)
_v_addc_co_u32 v103, vcc, v35, v41, vcc            // addrVgpr = D + index*bytes (hi)
s_mov_b64 exec, -1                                 // full mask -1 -> exec
/* (d1,vc1,d0,vc0)=(1,3,0,1) */
_v_add_co_u32 v38, vcc, v32, 1                     // coord0.1: coord0 += d0*sg0*VW + vc0
GLOBAL_OFFSET_C 106, 38, 33, sgprWorkGroup2, 40
v_mov_b32 v40, v106                                // temp store offset 0
v_mov_b32 v41, v107                                // temp store offset 1
v_cmp_lt_u32 s[36:37], v38, s[sgprSizesFree+0]     // coord0 < size0
v_cmp_lt_u32 s[38:39], v33, s[sgprSizesFree+1]     // coord1 < size1
s_and_b64 s[70:71], s[36:37], s[38:39]             // in0 && in1
s_mov_b64 exec, s[70:71]                           // sgprs -> exec
_v_add_co_u32 v106, vcc, v36, v40                  // addrVgpr = C + index*bytes (lo)
_v_addc_co_u32 v107, vcc, v37, v41, vcc            // addrVgpr = C + index*bytes (hi)
_global_load_b32 v108, v[106:107], off, offset:0,  sc0 sc1 // load C for beta calc
GLOBAL_OFFSET_D 106, 38, 33, sgprWorkGroup2, 40
v_mov_b32 v40, v106                                // temp store offset 0
v_mov_b32 v41, v107                                // temp store offset 1
v_cmp_lt_u32 s[36:37], v38, s[sgprSizesFree+0]     // coord0 < size0
v_cmp_lt_u32 s[38:39], v33, s[sgprSizesFree+1]     // coord1 < size1
s_and_b64 s[70:71], s[36:37], s[38:39]             // in0 && in1
s_mov_b64 exec, s[70:71]                           // sgprs -> exec
_v_add_co_u32 v106, vcc, v34, v40                  // addrVgpr = D + index*bytes (lo)
_v_addc_co_u32 v107, vcc, v35, v41, vcc            // addrVgpr = D + index*bytes (hi)
s_mov_b64 exec, -1                                 // full mask -1 -> exec
/* (d1,vc1,d0,vc0)=(2,0,0,0) */
_v_add_co_u32 v33, vcc, v33, 13                    // coord1.1: coord1Vgpr += d1*sg1*VW + vc1
GLOBAL_OFFSET_C 110, 32, 33, sgprWorkGroup2, 40
v_mov_b32 v40, v110                                // temp store offset 0
v_mov_b32 v41, v111                                // temp store offset 1
v_cmp_lt_u32 s[36:37], v32, s[sgprSizesFree+0]     // coord0 < size0
v_cmp_lt_u32 s[38:39], v33, s[sgprSizesFree+1]     // coord1 < size1
s_and_b64 s[72:73], s[36:37], s[38:39]             // in0 && in1
s_mov_b64 exec, s[72:73]                           // sgprs -> exec
_v_add_co_u32 v110, vcc, v36, v40                  // addrVgpr = C + index*bytes (lo)
_v_addc_co_u32 v111, vcc, v37, v41, vcc            // addrVgpr = C + index*bytes (hi)
_global_load_b32 v112, v[110:111], off, offset:0,  sc0 sc1 // load C for beta calc
GLOBAL_OFFSET_D 110, 32, 33, sgprWorkGroup2, 40
v_mov_b32 v40, v110                                // temp store offset 0
v_mov_b32 v41, v111                                // temp store offset 1
v_cmp_lt_u32 s[36:37], v32, s[sgprSizesFree+0]     // coord0 < size0
v_cmp_lt_u32 s[38:39], v33, s[sgprSizesFree+1]     // coord1 < size1
s_and_b64 s[72:73], s[36:37], s[38:39]             // in0 && in1
s_mov_b64 exec, s[72:73]                           // sgprs -> exec
_v_add_co_u32 v110, vcc, v34, v40                  // addrVgpr = D + index*bytes (lo)
_v_addc_co_u32 v111, vcc, v35, v41, vcc            // addrVgpr = D + index*bytes (hi)
s_mov_b64 exec, -1                                 // full mask -1 -> exec
/* (d1,vc1,d0,vc0)=(2,0,0,1) */
_v_add_co_u32 v38, vcc, v32, 1                     // coord0.1: coord0 += d0*sg0*VW + vc0
GLOBAL_OFFSET_C 114, 38, 33, sgprWorkGroup2, 40
v_mov_b32 v40, v114                                // temp store offset 0
v_mov_b32 v41, v115                                // temp store offset 1
v_cmp_lt_u32 s[36:37], v38, s[sgprSizesFree+0]     // coord0 < size0
v_cmp_lt_u32 s[38:39], v33, s[sgprSizesFree+1]     // coord1 < size1
s_and_b64 s[74:75], s[36:37], s[38:39]             // in0 && in1
s_mov_b64 exec, s[74:75]                           // sgprs -> exec
_v_add_co_u32 v114, vcc, v36, v40                  // addrVgpr = C + index*bytes (lo)
_v_addc_co_u32 v115, vcc, v37, v41, vcc            // addrVgpr = C + index*bytes (hi)
_global_load_b32 v116, v[114:115], off, offset:0,  sc0 sc1 // load C for beta calc
GLOBAL_OFFSET_D 114, 38, 33, sgprWorkGroup2, 40
v_mov_b32 v40, v114                                // temp store offset 0
v_mov_b32 v41, v115                                // temp store offset 1
v_cmp_lt_u32 s[36:37], v38, s[sgprSizesFree+0]     // coord0 < size0
v_cmp_lt_u32 s[38:39], v33, s[sgprSizesFree+1]     // coord1 < size1
s_and_b64 s[74:75], s[36:37], s[38:39]             // in0 && in1
s_mov_b64 exec, s[74:75]                           // sgprs -> exec
_v_add_co_u32 v114, vcc, v34, v40                  // addrVgpr = D + index*bytes (lo)
_v_addc_co_u32 v115, vcc, v35, v41, vcc            // addrVgpr = D + index*bytes (hi)
s_mov_b64 exec, -1                                 // full mask -1 -> exec
/* (d1,vc1,d0,vc0)=(2,1,0,0) */
_v_add_co_u32 v33, vcc, v33, 1                     // coord1.1: coord1Vgpr += d1*sg1*VW + vc1
GLOBAL_OFFSET_C 118, 32, 33, sgprWorkGroup2, 40
v_mov_b32 v40, v118                                // temp store offset 0
v_mov_b32 v41, v119                                // temp store offset 1
v_cmp_lt_u32 s[36:37], v32, s[sgprSizesFree+0]     // coord0 < size0
v_cmp_lt_u32 s[38:39], v33, s[sgprSizesFree+1]     // coord1 < size1
s_and_b64 s[76:77], s[36:37], s[38:39]             // in0 && in1
s_mov_b64 exec, s[76:77]                           // sgprs -> exec
_v_add_co_u32 v118, vcc, v36, v40                  // addrVgpr = C + index*bytes (lo)
_v_addc_co_u32 v119, vcc, v37, v41, vcc            // addrVgpr = C + index*bytes (hi)
_global_load_b32 v120, v[118:119], off, offset:0,  sc0 sc1 // load C for beta calc
GLOBAL_OFFSET_D 118, 32, 33, sgprWorkGroup2, 40
v_mov_b32 v40, v118                                // temp store offset 0
v_mov_b32 v41, v119                                // temp store offset 1
v_cmp_lt_u32 s[36:37], v32, s[sgprSizesFree+0]     // coord0 < size0
v_cmp_lt_u32 s[38:39], v33, s[sgprSizesFree+1]     // coord1 < size1
s_and_b64 s[76:77], s[36:37], s[38:39]             // in0 && in1
s_mov_b64 exec, s[76:77]                           // sgprs -> exec
_v_add_co_u32 v118, vcc, v34, v40                  // addrVgpr = D + index*bytes (lo)
_v_addc_co_u32 v119, vcc, v35, v41, vcc            // addrVgpr = D + index*bytes (hi)
s_mov_b64 exec, -1                                 // full mask -1 -> exec
/* (d1,vc1,d0,vc0)=(2,1,0,1) */
_v_add_co_u32 v38, vcc, v32, 1                     // coord0.1: coord0 += d0*sg0*VW + vc0
GLOBAL_OFFSET_C 122, 38, 33, sgprWorkGroup2, 40
v_mov_b32 v40, v122                                // temp store offset 0
v_mov_b32 v41, v123                                // temp store offset 1
v_cmp_lt_u32 s[36:37], v38, s[sgprSizesFree+0]     // coord0 < size0
v_cmp_lt_u32 s[38:39], v33, s[sgprSizesFree+1]     // coord1 < size1
s_and_b64 s[78:79], s[36:37], s[38:39]             // in0 && in1
s_mov_b64 exec, s[78:79]                           // sgprs -> exec
_v_add_co_u32 v122, vcc, v36, v40                  // addrVgpr = C + index*bytes (lo)
_v_addc_co_u32 v123, vcc, v37, v41, vcc            // addrVgpr = C + index*bytes (hi)
_global_load_b32 v124, v[122:123], off, offset:0,  sc0 sc1 // load C for beta calc
GLOBAL_OFFSET_D 122, 38, 33, sgprWorkGroup2, 40
v_mov_b32 v40, v122                                // temp store offset 0
v_mov_b32 v41, v123                                // temp store offset 1
v_cmp_lt_u32 s[36:37], v38, s[sgprSizesFree+0]     // coord0 < size0
v_cmp_lt_u32 s[38:39], v33, s[sgprSizesFree+1]     // coord1 < size1
s_and_b64 s[78:79], s[36:37], s[38:39]             // in0 && in1
s_mov_b64 exec, s[78:79]                           // sgprs -> exec
_v_add_co_u32 v122, vcc, v34, v40                  // addrVgpr = D + index*bytes (lo)
_v_addc_co_u32 v123, vcc, v35, v41, vcc            // addrVgpr = D + index*bytes (hi)
s_mov_b64 exec, -1                                 // full mask -1 -> exec
s_sleep 7 // optimization: sync and wait
s_barrier
s_waitcnt vmcnt(0)                                 // wait C

/* apply mask, calc new C and issue writes */
s_mov_b64 exec, s[40:41]                           // sgprs -> exec
_v_mac_f32 v[vgprValuC+46], v43, s[sgprBeta]       // finalSum = sum*alpha + C*beta
_global_store_b32 v[44:45], v46, off,  sc0 sc1     // store D
s_mov_b64 exec, s[42:43]                           // sgprs -> exec
_v_mac_f32 v[vgprValuC+50], v47, s[sgprBeta]       // finalSum = sum*alpha + C*beta
_global_store_b32 v[48:49], v50, off,  sc0 sc1     // store D
s_mov_b64 exec, s[44:45]                           // sgprs -> exec
_v_mac_f32 v[vgprValuC+54], v51, s[sgprBeta]       // finalSum = sum*alpha + C*beta
_global_store_b32 v[52:53], v54, off,  sc0 sc1     // store D
s_mov_b64 exec, s[46:47]                           // sgprs -> exec
_v_mac_f32 v[vgprValuC+58], v55, s[sgprBeta]       // finalSum = sum*alpha + C*beta
_global_store_b32 v[56:57], v58, off,  sc0 sc1     // store D
s_mov_b64 exec, s[48:49]                           // sgprs -> exec
_v_mac_f32 v[vgprValuC+62], v59, s[sgprBeta]       // finalSum = sum*alpha + C*beta
_global_store_b32 v[60:61], v62, off,  sc0 sc1     // store D
s_mov_b64 exec, s[50:51]                           // sgprs -> exec
_v_mac_f32 v[vgprValuC+66], v63, s[sgprBeta]       // finalSum = sum*alpha + C*beta
_global_store_b32 v[64:65], v66, off,  sc0 sc1     // store D
s_mov_b64 exec, s[52:53]                           // sgprs -> exec
_v_mac_f32 v[vgprValuC+70], v67, s[sgprBeta]       // finalSum = sum*alpha + C*beta
_global_store_b32 v[68:69], v70, off,  sc0 sc1     // store D
s_mov_b64 exec, s[54:55]                           // sgprs -> exec
_v_mac_f32 v[vgprValuC+74], v71, s[sgprBeta]       // finalSum = sum*alpha + C*beta
_global_store_b32 v[72:73], v74, off,  sc0 sc1     // store D
s_mov_b64 exec, s[56:57]                           // sgprs -> exec
_v_mac_f32 v[vgprValuC+78], v75, s[sgprBeta]       // finalSum = sum*alpha + C*beta
_global_store_b32 v[76:77], v78, off,  sc0 sc1     // store D
s_mov_b64 exec, s[58:59]                           // sgprs -> exec
_v_mac_f32 v[vgprValuC+83], v79, s[sgprBeta]       // finalSum = sum*alpha + C*beta
_global_store_b32 v[84:85], v83, off,  sc0 sc1     // store D
s_mov_b64 exec, s[60:61]                           // sgprs -> exec
_v_mac_f32 v[vgprValuC+89], v88, s[sgprBeta]       // finalSum = sum*alpha + C*beta
_global_store_b32 v[86:87], v89, off,  sc0 sc1     // store D
s_mov_b64 exec, s[62:63]                           // sgprs -> exec
_v_mac_f32 v[vgprValuC+93], v92, s[sgprBeta]       // finalSum = sum*alpha + C*beta
_global_store_b32 v[90:91], v93, off,  sc0 sc1     // store D
s_mov_b64 exec, s[64:65]                           // sgprs -> exec
_v_mac_f32 v[vgprValuC+97], v96, s[sgprBeta]       // finalSum = sum*alpha + C*beta
_global_store_b32 v[94:95], v97, off,  sc0 sc1     // store D
s_mov_b64 exec, s[66:67]                           // sgprs -> exec
_v_mac_f32 v[vgprValuC+101], v100, s[sgprBeta]     // finalSum = sum*alpha + C*beta
_global_store_b32 v[98:99], v101, off,  sc0 sc1    // store D
s_mov_b64 exec, s[68:69]                           // sgprs -> exec
_v_mac_f32 v[vgprValuC+105], v104, s[sgprBeta]     // finalSum = sum*alpha + C*beta
_global_store_b32 v[102:103], v105, off,  sc0 sc1  // store D
s_mov_b64 exec, s[70:71]                           // sgprs -> exec
_v_mac_f32 v[vgprValuC+109], v108, s[sgprBeta]     // finalSum = sum*alpha + C*beta
_global_store_b32 v[106:107], v109, off,  sc0 sc1  // store D
	;; [unrolled: 3-line block ×6, first 2 shown]
s_mov_b64 exec, -1                                 // full mask -> exec
s_nop 0                                            // 1 wait state required when next inst writes vgprs held by previous dwordx4 store inst
/* optSingleColVgpr=0 optSharedColVgpr=0 optSGPRUsage=None optSrdIncForRow=0 */
s_sleep 7 // optimization: sync and wait
s_barrier

/******************************************/
/* Global Write Alpha Beta Edge Batch #1 (d1,d0,vc1,vc0) = */
/*    (2,0,2,0:vw1); (2,0,2,1:vw1); (2,0,3,0:vw1); (2,0,3,1:vw1); (3,0,0,0:vw1); (3,0,0,1:vw1); (3,0,1,0:vw1); (3,0,1,1:vw1); (3,0,2,0:vw1); (3,0,2,1:vw1); (3,0,3,0:vw1); (3,0,3,1:vw1) */
/******************************************/

/* calc coords, apply mask, and issue loads (if necessary) */

/* rC *= alpha batchElements=[(2, 0, 2, 0), (2, 0, 2, 1), (2, 0, 3, 0), (2, 0, 3, 1), (3, 0, 0, 0), (3, 0, 0, 1), (3, 0, 1, 0), (3, 0, 1, 1), (3, 0, 2, 0), (3, 0, 2, 1), (3, 0, 3, 0), (3, 0, 3, 1)] */
v_mul_f32 v[vgprValuC+46], s[sgprAlpha], v[vgprValuC+18] // Multiply MI out reg with alpha
v_mul_f32 v[vgprValuC+50], s[sgprAlpha], v[vgprValuC+22] // Multiply MI out reg with alpha
	;; [unrolled: 1-line block ×12, first 2 shown]
/* (d1,vc1,d0,vc0)=(2,2,0,0) */
_v_add_co_u32 v33, vcc, v33, 1                     // coord1.1: coord1Vgpr += d1*sg1*VW + vc1
GLOBAL_OFFSET_C 44, 32, 33, sgprWorkGroup2, 40
v_mov_b32 v40, v44                                 // temp store offset 0
v_mov_b32 v41, v45                                 // temp store offset 1
v_cmp_lt_u32 s[36:37], v32, s[sgprSizesFree+0]     // coord0 < size0
v_cmp_lt_u32 s[38:39], v33, s[sgprSizesFree+1]     // coord1 < size1
s_and_b64 s[40:41], s[36:37], s[38:39]             // in0 && in1
s_mov_b64 exec, s[40:41]                           // sgprs -> exec
_v_add_co_u32 v44, vcc, v36, v40                   // addrVgpr = C + index*bytes (lo)
_v_addc_co_u32 v45, vcc, v37, v41, vcc             // addrVgpr = C + index*bytes (hi)
_global_load_b32 v43, v[44:45], off, offset:0,  sc0 sc1 // load C for beta calc
GLOBAL_OFFSET_D 44, 32, 33, sgprWorkGroup2, 40
v_mov_b32 v40, v44                                 // temp store offset 0
v_mov_b32 v41, v45                                 // temp store offset 1
v_cmp_lt_u32 s[36:37], v32, s[sgprSizesFree+0]     // coord0 < size0
v_cmp_lt_u32 s[38:39], v33, s[sgprSizesFree+1]     // coord1 < size1
s_and_b64 s[40:41], s[36:37], s[38:39]             // in0 && in1
s_mov_b64 exec, s[40:41]                           // sgprs -> exec
_v_add_co_u32 v44, vcc, v34, v40                   // addrVgpr = D + index*bytes (lo)
_v_addc_co_u32 v45, vcc, v35, v41, vcc             // addrVgpr = D + index*bytes (hi)
s_mov_b64 exec, -1                                 // full mask -1 -> exec
/* (d1,vc1,d0,vc0)=(2,2,0,1) */
_v_add_co_u32 v38, vcc, v32, 1                     // coord0.1: coord0 += d0*sg0*VW + vc0
GLOBAL_OFFSET_C 48, 38, 33, sgprWorkGroup2, 40
v_mov_b32 v40, v48                                 // temp store offset 0
v_mov_b32 v41, v49                                 // temp store offset 1
v_cmp_lt_u32 s[36:37], v38, s[sgprSizesFree+0]     // coord0 < size0
v_cmp_lt_u32 s[38:39], v33, s[sgprSizesFree+1]     // coord1 < size1
s_and_b64 s[42:43], s[36:37], s[38:39]             // in0 && in1
s_mov_b64 exec, s[42:43]                           // sgprs -> exec
_v_add_co_u32 v48, vcc, v36, v40                   // addrVgpr = C + index*bytes (lo)
_v_addc_co_u32 v49, vcc, v37, v41, vcc             // addrVgpr = C + index*bytes (hi)
_global_load_b32 v47, v[48:49], off, offset:0,  sc0 sc1 // load C for beta calc
GLOBAL_OFFSET_D 48, 38, 33, sgprWorkGroup2, 40
v_mov_b32 v40, v48                                 // temp store offset 0
v_mov_b32 v41, v49                                 // temp store offset 1
v_cmp_lt_u32 s[36:37], v38, s[sgprSizesFree+0]     // coord0 < size0
v_cmp_lt_u32 s[38:39], v33, s[sgprSizesFree+1]     // coord1 < size1
s_and_b64 s[42:43], s[36:37], s[38:39]             // in0 && in1
s_mov_b64 exec, s[42:43]                           // sgprs -> exec
_v_add_co_u32 v48, vcc, v34, v40                   // addrVgpr = D + index*bytes (lo)
_v_addc_co_u32 v49, vcc, v35, v41, vcc             // addrVgpr = D + index*bytes (hi)
s_mov_b64 exec, -1                                 // full mask -1 -> exec
/* (d1,vc1,d0,vc0)=(2,3,0,0) */
_v_add_co_u32 v33, vcc, v33, 1                     // coord1.1: coord1Vgpr += d1*sg1*VW + vc1
GLOBAL_OFFSET_C 52, 32, 33, sgprWorkGroup2, 40
v_mov_b32 v40, v52                                 // temp store offset 0
v_mov_b32 v41, v53                                 // temp store offset 1
v_cmp_lt_u32 s[36:37], v32, s[sgprSizesFree+0]     // coord0 < size0
v_cmp_lt_u32 s[38:39], v33, s[sgprSizesFree+1]     // coord1 < size1
s_and_b64 s[44:45], s[36:37], s[38:39]             // in0 && in1
s_mov_b64 exec, s[44:45]                           // sgprs -> exec
_v_add_co_u32 v52, vcc, v36, v40                   // addrVgpr = C + index*bytes (lo)
_v_addc_co_u32 v53, vcc, v37, v41, vcc             // addrVgpr = C + index*bytes (hi)
_global_load_b32 v51, v[52:53], off, offset:0,  sc0 sc1 // load C for beta calc
GLOBAL_OFFSET_D 52, 32, 33, sgprWorkGroup2, 40
v_mov_b32 v40, v52                                 // temp store offset 0
v_mov_b32 v41, v53                                 // temp store offset 1
v_cmp_lt_u32 s[36:37], v32, s[sgprSizesFree+0]     // coord0 < size0
v_cmp_lt_u32 s[38:39], v33, s[sgprSizesFree+1]     // coord1 < size1
s_and_b64 s[44:45], s[36:37], s[38:39]             // in0 && in1
s_mov_b64 exec, s[44:45]                           // sgprs -> exec
_v_add_co_u32 v52, vcc, v34, v40                   // addrVgpr = D + index*bytes (lo)
_v_addc_co_u32 v53, vcc, v35, v41, vcc             // addrVgpr = D + index*bytes (hi)
s_mov_b64 exec, -1                                 // full mask -1 -> exec
/* (d1,vc1,d0,vc0)=(2,3,0,1) */
_v_add_co_u32 v38, vcc, v32, 1                     // coord0.1: coord0 += d0*sg0*VW + vc0
GLOBAL_OFFSET_C 56, 38, 33, sgprWorkGroup2, 40
v_mov_b32 v40, v56                                 // temp store offset 0
v_mov_b32 v41, v57                                 // temp store offset 1
v_cmp_lt_u32 s[36:37], v38, s[sgprSizesFree+0]     // coord0 < size0
v_cmp_lt_u32 s[38:39], v33, s[sgprSizesFree+1]     // coord1 < size1
s_and_b64 s[46:47], s[36:37], s[38:39]             // in0 && in1
s_mov_b64 exec, s[46:47]                           // sgprs -> exec
_v_add_co_u32 v56, vcc, v36, v40                   // addrVgpr = C + index*bytes (lo)
_v_addc_co_u32 v57, vcc, v37, v41, vcc             // addrVgpr = C + index*bytes (hi)
_global_load_b32 v55, v[56:57], off, offset:0,  sc0 sc1 // load C for beta calc
GLOBAL_OFFSET_D 56, 38, 33, sgprWorkGroup2, 40
v_mov_b32 v40, v56                                 // temp store offset 0
v_mov_b32 v41, v57                                 // temp store offset 1
v_cmp_lt_u32 s[36:37], v38, s[sgprSizesFree+0]     // coord0 < size0
v_cmp_lt_u32 s[38:39], v33, s[sgprSizesFree+1]     // coord1 < size1
s_and_b64 s[46:47], s[36:37], s[38:39]             // in0 && in1
s_mov_b64 exec, s[46:47]                           // sgprs -> exec
_v_add_co_u32 v56, vcc, v34, v40                   // addrVgpr = D + index*bytes (lo)
_v_addc_co_u32 v57, vcc, v35, v41, vcc             // addrVgpr = D + index*bytes (hi)
s_mov_b64 exec, -1                                 // full mask -1 -> exec
/* (d1,vc1,d0,vc0)=(3,0,0,0) */
_v_add_co_u32 v33, vcc, v33, 13                    // coord1.1: coord1Vgpr += d1*sg1*VW + vc1
GLOBAL_OFFSET_C 60, 32, 33, sgprWorkGroup2, 40
v_mov_b32 v40, v60                                 // temp store offset 0
v_mov_b32 v41, v61                                 // temp store offset 1
v_cmp_lt_u32 s[36:37], v32, s[sgprSizesFree+0]     // coord0 < size0
v_cmp_lt_u32 s[38:39], v33, s[sgprSizesFree+1]     // coord1 < size1
s_and_b64 s[48:49], s[36:37], s[38:39]             // in0 && in1
s_mov_b64 exec, s[48:49]                           // sgprs -> exec
_v_add_co_u32 v60, vcc, v36, v40                   // addrVgpr = C + index*bytes (lo)
_v_addc_co_u32 v61, vcc, v37, v41, vcc             // addrVgpr = C + index*bytes (hi)
_global_load_b32 v59, v[60:61], off, offset:0,  sc0 sc1 // load C for beta calc
GLOBAL_OFFSET_D 60, 32, 33, sgprWorkGroup2, 40
v_mov_b32 v40, v60                                 // temp store offset 0
v_mov_b32 v41, v61                                 // temp store offset 1
v_cmp_lt_u32 s[36:37], v32, s[sgprSizesFree+0]     // coord0 < size0
v_cmp_lt_u32 s[38:39], v33, s[sgprSizesFree+1]     // coord1 < size1
s_and_b64 s[48:49], s[36:37], s[38:39]             // in0 && in1
s_mov_b64 exec, s[48:49]                           // sgprs -> exec
_v_add_co_u32 v60, vcc, v34, v40                   // addrVgpr = D + index*bytes (lo)
_v_addc_co_u32 v61, vcc, v35, v41, vcc             // addrVgpr = D + index*bytes (hi)
s_mov_b64 exec, -1                                 // full mask -1 -> exec
/* (d1,vc1,d0,vc0)=(3,0,0,1) */
_v_add_co_u32 v38, vcc, v32, 1                     // coord0.1: coord0 += d0*sg0*VW + vc0
GLOBAL_OFFSET_C 64, 38, 33, sgprWorkGroup2, 40
v_mov_b32 v40, v64                                 // temp store offset 0
v_mov_b32 v41, v65                                 // temp store offset 1
v_cmp_lt_u32 s[36:37], v38, s[sgprSizesFree+0]     // coord0 < size0
v_cmp_lt_u32 s[38:39], v33, s[sgprSizesFree+1]     // coord1 < size1
s_and_b64 s[50:51], s[36:37], s[38:39]             // in0 && in1
s_mov_b64 exec, s[50:51]                           // sgprs -> exec
_v_add_co_u32 v64, vcc, v36, v40                   // addrVgpr = C + index*bytes (lo)
_v_addc_co_u32 v65, vcc, v37, v41, vcc             // addrVgpr = C + index*bytes (hi)
_global_load_b32 v63, v[64:65], off, offset:0,  sc0 sc1 // load C for beta calc
GLOBAL_OFFSET_D 64, 38, 33, sgprWorkGroup2, 40
v_mov_b32 v40, v64                                 // temp store offset 0
v_mov_b32 v41, v65                                 // temp store offset 1
v_cmp_lt_u32 s[36:37], v38, s[sgprSizesFree+0]     // coord0 < size0
v_cmp_lt_u32 s[38:39], v33, s[sgprSizesFree+1]     // coord1 < size1
s_and_b64 s[50:51], s[36:37], s[38:39]             // in0 && in1
s_mov_b64 exec, s[50:51]                           // sgprs -> exec
_v_add_co_u32 v64, vcc, v34, v40                   // addrVgpr = D + index*bytes (lo)
_v_addc_co_u32 v65, vcc, v35, v41, vcc             // addrVgpr = D + index*bytes (hi)
s_mov_b64 exec, -1                                 // full mask -1 -> exec
/* (d1,vc1,d0,vc0)=(3,1,0,0) */
_v_add_co_u32 v33, vcc, v33, 1                     // coord1.1: coord1Vgpr += d1*sg1*VW + vc1
GLOBAL_OFFSET_C 68, 32, 33, sgprWorkGroup2, 40
v_mov_b32 v40, v68                                 // temp store offset 0
v_mov_b32 v41, v69                                 // temp store offset 1
v_cmp_lt_u32 s[36:37], v32, s[sgprSizesFree+0]     // coord0 < size0
v_cmp_lt_u32 s[38:39], v33, s[sgprSizesFree+1]     // coord1 < size1
s_and_b64 s[52:53], s[36:37], s[38:39]             // in0 && in1
s_mov_b64 exec, s[52:53]                           // sgprs -> exec
_v_add_co_u32 v68, vcc, v36, v40                   // addrVgpr = C + index*bytes (lo)
_v_addc_co_u32 v69, vcc, v37, v41, vcc             // addrVgpr = C + index*bytes (hi)
_global_load_b32 v67, v[68:69], off, offset:0,  sc0 sc1 // load C for beta calc
GLOBAL_OFFSET_D 68, 32, 33, sgprWorkGroup2, 40
v_mov_b32 v40, v68                                 // temp store offset 0
v_mov_b32 v41, v69                                 // temp store offset 1
v_cmp_lt_u32 s[36:37], v32, s[sgprSizesFree+0]     // coord0 < size0
v_cmp_lt_u32 s[38:39], v33, s[sgprSizesFree+1]     // coord1 < size1
s_and_b64 s[52:53], s[36:37], s[38:39]             // in0 && in1
s_mov_b64 exec, s[52:53]                           // sgprs -> exec
_v_add_co_u32 v68, vcc, v34, v40                   // addrVgpr = D + index*bytes (lo)
_v_addc_co_u32 v69, vcc, v35, v41, vcc             // addrVgpr = D + index*bytes (hi)
s_mov_b64 exec, -1                                 // full mask -1 -> exec
/* (d1,vc1,d0,vc0)=(3,1,0,1) */
_v_add_co_u32 v38, vcc, v32, 1                     // coord0.1: coord0 += d0*sg0*VW + vc0
GLOBAL_OFFSET_C 72, 38, 33, sgprWorkGroup2, 40
v_mov_b32 v40, v72                                 // temp store offset 0
v_mov_b32 v41, v73                                 // temp store offset 1
v_cmp_lt_u32 s[36:37], v38, s[sgprSizesFree+0]     // coord0 < size0
v_cmp_lt_u32 s[38:39], v33, s[sgprSizesFree+1]     // coord1 < size1
s_and_b64 s[54:55], s[36:37], s[38:39]             // in0 && in1
s_mov_b64 exec, s[54:55]                           // sgprs -> exec
_v_add_co_u32 v72, vcc, v36, v40                   // addrVgpr = C + index*bytes (lo)
_v_addc_co_u32 v73, vcc, v37, v41, vcc             // addrVgpr = C + index*bytes (hi)
_global_load_b32 v71, v[72:73], off, offset:0,  sc0 sc1 // load C for beta calc
GLOBAL_OFFSET_D 72, 38, 33, sgprWorkGroup2, 40
v_mov_b32 v40, v72                                 // temp store offset 0
v_mov_b32 v41, v73                                 // temp store offset 1
v_cmp_lt_u32 s[36:37], v38, s[sgprSizesFree+0]     // coord0 < size0
v_cmp_lt_u32 s[38:39], v33, s[sgprSizesFree+1]     // coord1 < size1
s_and_b64 s[54:55], s[36:37], s[38:39]             // in0 && in1
s_mov_b64 exec, s[54:55]                           // sgprs -> exec
_v_add_co_u32 v72, vcc, v34, v40                   // addrVgpr = D + index*bytes (lo)
_v_addc_co_u32 v73, vcc, v35, v41, vcc             // addrVgpr = D + index*bytes (hi)
s_mov_b64 exec, -1                                 // full mask -1 -> exec
/* (d1,vc1,d0,vc0)=(3,2,0,0) */
_v_add_co_u32 v33, vcc, v33, 1                     // coord1.1: coord1Vgpr += d1*sg1*VW + vc1
	;; [unrolled: 44-line block ×3, first 2 shown]
GLOBAL_OFFSET_C 86, 32, 33, sgprWorkGroup2, 40
v_mov_b32 v40, v86                                 // temp store offset 0
v_mov_b32 v41, v87                                 // temp store offset 1
v_cmp_lt_u32 s[36:37], v32, s[sgprSizesFree+0]     // coord0 < size0
v_cmp_lt_u32 s[38:39], v33, s[sgprSizesFree+1]     // coord1 < size1
s_and_b64 s[60:61], s[36:37], s[38:39]             // in0 && in1
s_mov_b64 exec, s[60:61]                           // sgprs -> exec
_v_add_co_u32 v86, vcc, v36, v40                   // addrVgpr = C + index*bytes (lo)
_v_addc_co_u32 v87, vcc, v37, v41, vcc             // addrVgpr = C + index*bytes (hi)
_global_load_b32 v88, v[86:87], off, offset:0,  sc0 sc1 // load C for beta calc
GLOBAL_OFFSET_D 86, 32, 33, sgprWorkGroup2, 40
v_mov_b32 v40, v86                                 // temp store offset 0
v_mov_b32 v41, v87                                 // temp store offset 1
v_cmp_lt_u32 s[36:37], v32, s[sgprSizesFree+0]     // coord0 < size0
v_cmp_lt_u32 s[38:39], v33, s[sgprSizesFree+1]     // coord1 < size1
s_and_b64 s[60:61], s[36:37], s[38:39]             // in0 && in1
s_mov_b64 exec, s[60:61]                           // sgprs -> exec
_v_add_co_u32 v86, vcc, v34, v40                   // addrVgpr = D + index*bytes (lo)
_v_addc_co_u32 v87, vcc, v35, v41, vcc             // addrVgpr = D + index*bytes (hi)
s_mov_b64 exec, -1                                 // full mask -1 -> exec
/* (d1,vc1,d0,vc0)=(3,3,0,1) */
_v_add_co_u32 v38, vcc, v32, 1                     // coord0.1: coord0 += d0*sg0*VW + vc0
GLOBAL_OFFSET_C 90, 38, 33, sgprWorkGroup2, 40
v_mov_b32 v40, v90                                 // temp store offset 0
v_mov_b32 v41, v91                                 // temp store offset 1
v_cmp_lt_u32 s[36:37], v38, s[sgprSizesFree+0]     // coord0 < size0
v_cmp_lt_u32 s[38:39], v33, s[sgprSizesFree+1]     // coord1 < size1
s_and_b64 s[62:63], s[36:37], s[38:39]             // in0 && in1
s_mov_b64 exec, s[62:63]                           // sgprs -> exec
_v_add_co_u32 v90, vcc, v36, v40                   // addrVgpr = C + index*bytes (lo)
_v_addc_co_u32 v91, vcc, v37, v41, vcc             // addrVgpr = C + index*bytes (hi)
_global_load_b32 v92, v[90:91], off, offset:0,  sc0 sc1 // load C for beta calc
GLOBAL_OFFSET_D 90, 38, 33, sgprWorkGroup2, 40
v_mov_b32 v40, v90                                 // temp store offset 0
v_mov_b32 v41, v91                                 // temp store offset 1
v_cmp_lt_u32 s[36:37], v38, s[sgprSizesFree+0]     // coord0 < size0
v_cmp_lt_u32 s[38:39], v33, s[sgprSizesFree+1]     // coord1 < size1
s_and_b64 s[62:63], s[36:37], s[38:39]             // in0 && in1
s_mov_b64 exec, s[62:63]                           // sgprs -> exec
_v_add_co_u32 v90, vcc, v34, v40                   // addrVgpr = D + index*bytes (lo)
_v_addc_co_u32 v91, vcc, v35, v41, vcc             // addrVgpr = D + index*bytes (hi)
s_mov_b64 exec, -1                                 // full mask -1 -> exec
s_sleep 7 // optimization: sync and wait
s_barrier
s_waitcnt vmcnt(0)                                 // wait C

/* apply mask, calc new C and issue writes */
s_mov_b64 exec, s[40:41]                           // sgprs -> exec
_v_mac_f32 v[vgprValuC+46], v43, s[sgprBeta]       // finalSum = sum*alpha + C*beta
_global_store_b32 v[44:45], v46, off,  sc0 sc1     // store D
s_mov_b64 exec, s[42:43]                           // sgprs -> exec
_v_mac_f32 v[vgprValuC+50], v47, s[sgprBeta]       // finalSum = sum*alpha + C*beta
_global_store_b32 v[48:49], v50, off,  sc0 sc1     // store D
s_mov_b64 exec, s[44:45]                           // sgprs -> exec
_v_mac_f32 v[vgprValuC+54], v51, s[sgprBeta]       // finalSum = sum*alpha + C*beta
_global_store_b32 v[52:53], v54, off,  sc0 sc1     // store D
s_mov_b64 exec, s[46:47]                           // sgprs -> exec
_v_mac_f32 v[vgprValuC+58], v55, s[sgprBeta]       // finalSum = sum*alpha + C*beta
_global_store_b32 v[56:57], v58, off,  sc0 sc1     // store D
s_mov_b64 exec, s[48:49]                           // sgprs -> exec
_v_mac_f32 v[vgprValuC+62], v59, s[sgprBeta]       // finalSum = sum*alpha + C*beta
_global_store_b32 v[60:61], v62, off,  sc0 sc1     // store D
s_mov_b64 exec, s[50:51]                           // sgprs -> exec
_v_mac_f32 v[vgprValuC+66], v63, s[sgprBeta]       // finalSum = sum*alpha + C*beta
_global_store_b32 v[64:65], v66, off,  sc0 sc1     // store D
s_mov_b64 exec, s[52:53]                           // sgprs -> exec
_v_mac_f32 v[vgprValuC+70], v67, s[sgprBeta]       // finalSum = sum*alpha + C*beta
_global_store_b32 v[68:69], v70, off,  sc0 sc1     // store D
s_mov_b64 exec, s[54:55]                           // sgprs -> exec
_v_mac_f32 v[vgprValuC+74], v71, s[sgprBeta]       // finalSum = sum*alpha + C*beta
_global_store_b32 v[72:73], v74, off,  sc0 sc1     // store D
s_mov_b64 exec, s[56:57]                           // sgprs -> exec
_v_mac_f32 v[vgprValuC+78], v75, s[sgprBeta]       // finalSum = sum*alpha + C*beta
_global_store_b32 v[76:77], v78, off,  sc0 sc1     // store D
s_mov_b64 exec, s[58:59]                           // sgprs -> exec
_v_mac_f32 v[vgprValuC+83], v79, s[sgprBeta]       // finalSum = sum*alpha + C*beta
_global_store_b32 v[84:85], v83, off,  sc0 sc1     // store D
s_mov_b64 exec, s[60:61]                           // sgprs -> exec
_v_mac_f32 v[vgprValuC+89], v88, s[sgprBeta]       // finalSum = sum*alpha + C*beta
_global_store_b32 v[86:87], v89, off,  sc0 sc1     // store D
s_mov_b64 exec, s[62:63]                           // sgprs -> exec
_v_mac_f32 v[vgprValuC+93], v92, s[sgprBeta]       // finalSum = sum*alpha + C*beta
_global_store_b32 v[90:91], v93, off,  sc0 sc1     // store D
s_mov_b64 exec, -1                                 // full mask -> exec
s_nop 0                                            // 1 wait state required when next inst writes vgprs held by previous dwordx4 store inst
s_branch label_GW_End_32                           // jump to end
label_GW_End_32:

label_0037:  /// KernelEnd
s_endpgm                                           // Kernel End

